;; amdgpu-corpus repo=ROCm/rocFFT kind=compiled arch=gfx1030 opt=O3
	.text
	.amdgcn_target "amdgcn-amd-amdhsa--gfx1030"
	.amdhsa_code_object_version 6
	.protected	fft_rtc_back_len1925_factors_7_11_5_5_wgs_55_tpt_55_halfLds_sp_op_CI_CI_sbrr_dirReg ; -- Begin function fft_rtc_back_len1925_factors_7_11_5_5_wgs_55_tpt_55_halfLds_sp_op_CI_CI_sbrr_dirReg
	.globl	fft_rtc_back_len1925_factors_7_11_5_5_wgs_55_tpt_55_halfLds_sp_op_CI_CI_sbrr_dirReg
	.p2align	8
	.type	fft_rtc_back_len1925_factors_7_11_5_5_wgs_55_tpt_55_halfLds_sp_op_CI_CI_sbrr_dirReg,@function
fft_rtc_back_len1925_factors_7_11_5_5_wgs_55_tpt_55_halfLds_sp_op_CI_CI_sbrr_dirReg: ; @fft_rtc_back_len1925_factors_7_11_5_5_wgs_55_tpt_55_halfLds_sp_op_CI_CI_sbrr_dirReg
; %bb.0:
	s_clause 0x2
	s_load_dwordx4 s[16:19], s[4:5], 0x18
	s_load_dwordx4 s[12:15], s[4:5], 0x0
	;; [unrolled: 1-line block ×3, first 2 shown]
	v_mul_u32_u24_e32 v1, 0x4a8, v0
	v_mov_b32_e32 v4, 0
	v_mov_b32_e32 v2, 0
	;; [unrolled: 1-line block ×3, first 2 shown]
	s_waitcnt lgkmcnt(0)
	s_load_dwordx2 s[20:21], s[16:17], 0x0
	s_load_dwordx2 s[2:3], s[18:19], 0x0
	v_cmp_lt_u64_e64 s0, s[14:15], 2
	v_add_nc_u32_sdwa v6, s6, v1 dst_sel:DWORD dst_unused:UNUSED_PAD src0_sel:DWORD src1_sel:WORD_1
	v_mov_b32_e32 v7, v4
	s_and_b32 vcc_lo, exec_lo, s0
	s_cbranch_vccnz .LBB0_8
; %bb.1:
	s_load_dwordx2 s[0:1], s[4:5], 0x10
	v_mov_b32_e32 v2, 0
	v_mov_b32_e32 v3, 0
	s_add_u32 s6, s18, 8
	s_addc_u32 s7, s19, 0
	s_add_u32 s22, s16, 8
	s_addc_u32 s23, s17, 0
	v_mov_b32_e32 v33, v3
	v_mov_b32_e32 v32, v2
	s_mov_b64 s[26:27], 1
	s_waitcnt lgkmcnt(0)
	s_add_u32 s24, s0, 8
	s_addc_u32 s25, s1, 0
.LBB0_2:                                ; =>This Inner Loop Header: Depth=1
	s_load_dwordx2 s[28:29], s[24:25], 0x0
                                        ; implicit-def: $vgpr34_vgpr35
	s_mov_b32 s0, exec_lo
	s_waitcnt lgkmcnt(0)
	v_or_b32_e32 v5, s29, v7
	v_cmpx_ne_u64_e32 0, v[4:5]
	s_xor_b32 s1, exec_lo, s0
	s_cbranch_execz .LBB0_4
; %bb.3:                                ;   in Loop: Header=BB0_2 Depth=1
	v_cvt_f32_u32_e32 v1, s28
	v_cvt_f32_u32_e32 v5, s29
	s_sub_u32 s0, 0, s28
	s_subb_u32 s30, 0, s29
	v_fmac_f32_e32 v1, 0x4f800000, v5
	v_rcp_f32_e32 v1, v1
	v_mul_f32_e32 v1, 0x5f7ffffc, v1
	v_mul_f32_e32 v5, 0x2f800000, v1
	v_trunc_f32_e32 v5, v5
	v_fmac_f32_e32 v1, 0xcf800000, v5
	v_cvt_u32_f32_e32 v5, v5
	v_cvt_u32_f32_e32 v1, v1
	v_mul_lo_u32 v8, s0, v5
	v_mul_hi_u32 v9, s0, v1
	v_mul_lo_u32 v10, s30, v1
	v_add_nc_u32_e32 v8, v9, v8
	v_mul_lo_u32 v9, s0, v1
	v_add_nc_u32_e32 v8, v8, v10
	v_mul_hi_u32 v10, v1, v9
	v_mul_lo_u32 v11, v1, v8
	v_mul_hi_u32 v12, v1, v8
	v_mul_hi_u32 v13, v5, v9
	v_mul_lo_u32 v9, v5, v9
	v_mul_hi_u32 v14, v5, v8
	v_mul_lo_u32 v8, v5, v8
	v_add_co_u32 v10, vcc_lo, v10, v11
	v_add_co_ci_u32_e32 v11, vcc_lo, 0, v12, vcc_lo
	v_add_co_u32 v9, vcc_lo, v10, v9
	v_add_co_ci_u32_e32 v9, vcc_lo, v11, v13, vcc_lo
	v_add_co_ci_u32_e32 v10, vcc_lo, 0, v14, vcc_lo
	v_add_co_u32 v8, vcc_lo, v9, v8
	v_add_co_ci_u32_e32 v9, vcc_lo, 0, v10, vcc_lo
	v_add_co_u32 v1, vcc_lo, v1, v8
	v_add_co_ci_u32_e32 v5, vcc_lo, v5, v9, vcc_lo
	v_mul_hi_u32 v8, s0, v1
	v_mul_lo_u32 v10, s30, v1
	v_mul_lo_u32 v9, s0, v5
	v_add_nc_u32_e32 v8, v8, v9
	v_mul_lo_u32 v9, s0, v1
	v_add_nc_u32_e32 v8, v8, v10
	v_mul_hi_u32 v10, v1, v9
	v_mul_lo_u32 v11, v1, v8
	v_mul_hi_u32 v12, v1, v8
	v_mul_hi_u32 v13, v5, v9
	v_mul_lo_u32 v9, v5, v9
	v_mul_hi_u32 v14, v5, v8
	v_mul_lo_u32 v8, v5, v8
	v_add_co_u32 v10, vcc_lo, v10, v11
	v_add_co_ci_u32_e32 v11, vcc_lo, 0, v12, vcc_lo
	v_add_co_u32 v9, vcc_lo, v10, v9
	v_add_co_ci_u32_e32 v9, vcc_lo, v11, v13, vcc_lo
	v_add_co_ci_u32_e32 v10, vcc_lo, 0, v14, vcc_lo
	v_add_co_u32 v8, vcc_lo, v9, v8
	v_add_co_ci_u32_e32 v9, vcc_lo, 0, v10, vcc_lo
	v_add_co_u32 v1, vcc_lo, v1, v8
	v_add_co_ci_u32_e32 v5, vcc_lo, v5, v9, vcc_lo
	v_mul_hi_u32 v14, v6, v1
	v_mad_u64_u32 v[10:11], null, v7, v1, 0
	v_mad_u64_u32 v[8:9], null, v6, v5, 0
	v_mad_u64_u32 v[12:13], null, v7, v5, 0
	v_add_co_u32 v1, vcc_lo, v14, v8
	v_add_co_ci_u32_e32 v5, vcc_lo, 0, v9, vcc_lo
	v_add_co_u32 v1, vcc_lo, v1, v10
	v_add_co_ci_u32_e32 v1, vcc_lo, v5, v11, vcc_lo
	v_add_co_ci_u32_e32 v5, vcc_lo, 0, v13, vcc_lo
	v_add_co_u32 v1, vcc_lo, v1, v12
	v_add_co_ci_u32_e32 v5, vcc_lo, 0, v5, vcc_lo
	v_mul_lo_u32 v10, s29, v1
	v_mad_u64_u32 v[8:9], null, s28, v1, 0
	v_mul_lo_u32 v11, s28, v5
	v_sub_co_u32 v8, vcc_lo, v6, v8
	v_add3_u32 v9, v9, v11, v10
	v_sub_nc_u32_e32 v10, v7, v9
	v_subrev_co_ci_u32_e64 v10, s0, s29, v10, vcc_lo
	v_add_co_u32 v11, s0, v1, 2
	v_add_co_ci_u32_e64 v12, s0, 0, v5, s0
	v_sub_co_u32 v13, s0, v8, s28
	v_sub_co_ci_u32_e32 v9, vcc_lo, v7, v9, vcc_lo
	v_subrev_co_ci_u32_e64 v10, s0, 0, v10, s0
	v_cmp_le_u32_e32 vcc_lo, s28, v13
	v_cmp_eq_u32_e64 s0, s29, v9
	v_cndmask_b32_e64 v13, 0, -1, vcc_lo
	v_cmp_le_u32_e32 vcc_lo, s29, v10
	v_cndmask_b32_e64 v14, 0, -1, vcc_lo
	v_cmp_le_u32_e32 vcc_lo, s28, v8
	;; [unrolled: 2-line block ×3, first 2 shown]
	v_cndmask_b32_e64 v15, 0, -1, vcc_lo
	v_cmp_eq_u32_e32 vcc_lo, s29, v10
	v_cndmask_b32_e64 v8, v15, v8, s0
	v_cndmask_b32_e32 v10, v14, v13, vcc_lo
	v_add_co_u32 v13, vcc_lo, v1, 1
	v_add_co_ci_u32_e32 v14, vcc_lo, 0, v5, vcc_lo
	v_cmp_ne_u32_e32 vcc_lo, 0, v10
	v_cndmask_b32_e32 v9, v14, v12, vcc_lo
	v_cndmask_b32_e32 v10, v13, v11, vcc_lo
	v_cmp_ne_u32_e32 vcc_lo, 0, v8
	v_cndmask_b32_e32 v35, v5, v9, vcc_lo
	v_cndmask_b32_e32 v34, v1, v10, vcc_lo
.LBB0_4:                                ;   in Loop: Header=BB0_2 Depth=1
	s_andn2_saveexec_b32 s0, s1
	s_cbranch_execz .LBB0_6
; %bb.5:                                ;   in Loop: Header=BB0_2 Depth=1
	v_cvt_f32_u32_e32 v1, s28
	s_sub_i32 s1, 0, s28
	v_mov_b32_e32 v35, v4
	v_rcp_iflag_f32_e32 v1, v1
	v_mul_f32_e32 v1, 0x4f7ffffe, v1
	v_cvt_u32_f32_e32 v1, v1
	v_mul_lo_u32 v5, s1, v1
	v_mul_hi_u32 v5, v1, v5
	v_add_nc_u32_e32 v1, v1, v5
	v_mul_hi_u32 v1, v6, v1
	v_mul_lo_u32 v5, v1, s28
	v_add_nc_u32_e32 v8, 1, v1
	v_sub_nc_u32_e32 v5, v6, v5
	v_subrev_nc_u32_e32 v9, s28, v5
	v_cmp_le_u32_e32 vcc_lo, s28, v5
	v_cndmask_b32_e32 v5, v5, v9, vcc_lo
	v_cndmask_b32_e32 v1, v1, v8, vcc_lo
	v_cmp_le_u32_e32 vcc_lo, s28, v5
	v_add_nc_u32_e32 v8, 1, v1
	v_cndmask_b32_e32 v34, v1, v8, vcc_lo
.LBB0_6:                                ;   in Loop: Header=BB0_2 Depth=1
	s_or_b32 exec_lo, exec_lo, s0
	v_mul_lo_u32 v1, v35, s28
	v_mul_lo_u32 v5, v34, s29
	s_load_dwordx2 s[0:1], s[22:23], 0x0
	v_mad_u64_u32 v[8:9], null, v34, s28, 0
	s_load_dwordx2 s[28:29], s[6:7], 0x0
	s_add_u32 s26, s26, 1
	s_addc_u32 s27, s27, 0
	s_add_u32 s6, s6, 8
	s_addc_u32 s7, s7, 0
	s_add_u32 s22, s22, 8
	v_add3_u32 v1, v9, v5, v1
	v_sub_co_u32 v5, vcc_lo, v6, v8
	s_addc_u32 s23, s23, 0
	s_add_u32 s24, s24, 8
	v_sub_co_ci_u32_e32 v1, vcc_lo, v7, v1, vcc_lo
	s_addc_u32 s25, s25, 0
	s_waitcnt lgkmcnt(0)
	v_mul_lo_u32 v6, s0, v1
	v_mul_lo_u32 v7, s1, v5
	v_mad_u64_u32 v[2:3], null, s0, v5, v[2:3]
	v_mul_lo_u32 v1, s28, v1
	v_mul_lo_u32 v8, s29, v5
	v_mad_u64_u32 v[32:33], null, s28, v5, v[32:33]
	v_cmp_ge_u64_e64 s0, s[26:27], s[14:15]
	v_add3_u32 v3, v7, v3, v6
	v_add3_u32 v33, v8, v33, v1
	s_and_b32 vcc_lo, exec_lo, s0
	s_cbranch_vccnz .LBB0_9
; %bb.7:                                ;   in Loop: Header=BB0_2 Depth=1
	v_mov_b32_e32 v6, v34
	v_mov_b32_e32 v7, v35
	s_branch .LBB0_2
.LBB0_8:
	v_mov_b32_e32 v33, v3
	v_mov_b32_e32 v35, v7
	;; [unrolled: 1-line block ×4, first 2 shown]
.LBB0_9:
	s_load_dwordx2 s[0:1], s[4:5], 0x28
	v_mul_hi_u32 v4, 0x4a7904b, v0
	s_lshl_b64 s[6:7], s[14:15], 3
                                        ; implicit-def: $sgpr14_sgpr15
                                        ; implicit-def: $vgpr113
                                        ; implicit-def: $vgpr114
                                        ; implicit-def: $vgpr115
                                        ; implicit-def: $vgpr116
                                        ; implicit-def: $vgpr117
	s_add_u32 s4, s18, s6
	s_addc_u32 s5, s19, s7
	s_waitcnt lgkmcnt(0)
	v_cmp_gt_u64_e32 vcc_lo, s[0:1], v[34:35]
	v_cmp_le_u64_e64 s0, s[0:1], v[34:35]
	s_and_saveexec_b32 s1, s0
	s_xor_b32 s0, exec_lo, s1
; %bb.10:
	v_mul_u32_u24_e32 v1, 55, v4
	s_mov_b64 s[14:15], 0
                                        ; implicit-def: $vgpr4
                                        ; implicit-def: $vgpr2_vgpr3
	v_sub_nc_u32_e32 v113, v0, v1
                                        ; implicit-def: $vgpr0
	v_add_nc_u32_e32 v114, 55, v113
	v_add_nc_u32_e32 v115, 0x6e, v113
	;; [unrolled: 1-line block ×4, first 2 shown]
; %bb.11:
	s_or_saveexec_b32 s1, s0
	v_mov_b32_e32 v94, s15
	v_mov_b32_e32 v104, s15
	;; [unrolled: 1-line block ×40, first 2 shown]
                                        ; implicit-def: $vgpr108
                                        ; implicit-def: $vgpr110
                                        ; implicit-def: $vgpr96
                                        ; implicit-def: $vgpr100
                                        ; implicit-def: $vgpr66
                                        ; implicit-def: $vgpr68
                                        ; implicit-def: $vgpr70
                                        ; implicit-def: $vgpr54
                                        ; implicit-def: $vgpr56
                                        ; implicit-def: $vgpr1
                                        ; implicit-def: $vgpr86
                                        ; implicit-def: $vgpr82
                                        ; implicit-def: $vgpr80
                                        ; implicit-def: $vgpr102
                                        ; implicit-def: $vgpr112
	s_xor_b32 exec_lo, exec_lo, s1
	s_cbranch_execz .LBB0_13
; %bb.12:
	s_add_u32 s6, s16, s6
	s_addc_u32 s7, s17, s7
	v_mul_u32_u24_e32 v1, 55, v4
	s_load_dwordx2 s[6:7], s[6:7], 0x0
	v_lshlrev_b64 v[2:3], 3, v[2:3]
	v_sub_nc_u32_e32 v113, v0, v1
	v_add_nc_u32_e32 v13, 0x113, v113
	v_add_nc_u32_e32 v15, 0x226, v113
	v_mad_u64_u32 v[0:1], null, s20, v113, 0
	v_add_nc_u32_e32 v18, 0x339, v113
	v_mad_u64_u32 v[4:5], null, s20, v13, 0
	v_mad_u64_u32 v[6:7], null, s20, v15, 0
	v_add_nc_u32_e32 v20, 0x44c, v113
	v_mad_u64_u32 v[10:11], null, s21, v113, v[1:2]
	s_waitcnt lgkmcnt(0)
	v_mul_lo_u32 v14, s7, v34
	v_mul_lo_u32 v16, s6, v35
	v_mad_u64_u32 v[8:9], null, s6, v34, 0
	v_mov_b32_e32 v1, v5
	v_mad_u64_u32 v[11:12], null, s20, v18, 0
	v_mov_b32_e32 v5, v7
	v_add_nc_u32_e32 v114, 55, v113
	v_add_nc_u32_e32 v24, 0x14a, v113
	v_add3_u32 v9, v9, v16, v14
	v_mad_u64_u32 v[13:14], null, s21, v13, v[1:2]
	v_mov_b32_e32 v1, v10
	v_mad_u64_u32 v[16:17], null, s20, v20, 0
	v_lshlrev_b64 v[7:8], 3, v[8:9]
	v_mad_u64_u32 v[9:10], null, s21, v15, v[5:6]
	v_mov_b32_e32 v10, v12
	v_mov_b32_e32 v5, v13
	v_lshlrev_b64 v[0:1], 3, v[0:1]
	v_add_co_u32 v12, s0, s8, v7
	v_add_co_ci_u32_e64 v8, s0, s9, v8, s0
	v_mov_b32_e32 v7, v9
	v_add_co_u32 v14, s0, v12, v2
	v_add_co_ci_u32_e64 v15, s0, v8, v3, s0
	v_lshlrev_b64 v[2:3], 3, v[4:5]
	v_mad_u64_u32 v[4:5], null, s21, v18, v[10:11]
	v_add_nc_u32_e32 v10, 0x55f, v113
	v_lshlrev_b64 v[5:6], 3, v[6:7]
	v_mov_b32_e32 v7, v17
	v_add_co_u32 v0, s0, v14, v0
	v_mad_u64_u32 v[18:19], null, s20, v10, 0
	v_add_co_ci_u32_e64 v1, s0, v15, v1, s0
	v_mov_b32_e32 v12, v4
	v_mad_u64_u32 v[7:8], null, s21, v20, v[7:8]
	v_add_co_u32 v2, s0, v14, v2
	v_add_nc_u32_e32 v20, 0x672, v113
	v_add_co_ci_u32_e64 v3, s0, v15, v3, s0
	v_add_co_u32 v4, s0, v14, v5
	v_lshlrev_b64 v[8:9], 3, v[11:12]
	v_add_co_ci_u32_e64 v5, s0, v15, v6, s0
	v_mov_b32_e32 v6, v19
	v_mad_u64_u32 v[12:13], null, s20, v20, 0
	v_mov_b32_e32 v17, v7
	v_add_nc_u32_e32 v26, 0x25d, v113
	v_mad_u64_u32 v[10:11], null, s21, v10, v[6:7]
	v_add_co_u32 v6, s0, v14, v8
	v_add_co_ci_u32_e64 v7, s0, v15, v9, s0
	v_lshlrev_b64 v[8:9], 3, v[16:17]
	v_mad_u64_u32 v[16:17], null, s20, v114, 0
	v_mov_b32_e32 v11, v13
	v_mov_b32_e32 v19, v10
	v_add_nc_u32_e32 v28, 0x370, v113
	v_add_co_u32 v8, s0, v14, v8
	v_mad_u64_u32 v[10:11], null, s21, v20, v[11:12]
	v_mov_b32_e32 v11, v17
	v_mad_u64_u32 v[20:21], null, s20, v24, 0
	v_lshlrev_b64 v[18:19], 3, v[18:19]
	v_add_co_ci_u32_e64 v9, s0, v15, v9, s0
	v_mad_u64_u32 v[22:23], null, s21, v114, v[11:12]
	v_mov_b32_e32 v13, v10
	v_add_co_u32 v10, s0, v14, v18
	v_mov_b32_e32 v18, v21
	v_add_co_ci_u32_e64 v11, s0, v15, v19, s0
	v_mov_b32_e32 v17, v22
	v_mad_u64_u32 v[22:23], null, s20, v26, 0
	v_mad_u64_u32 v[18:19], null, s21, v24, v[18:19]
	;; [unrolled: 1-line block ×3, first 2 shown]
	v_lshlrev_b64 v[12:13], 3, v[12:13]
	v_add_nc_u32_e32 v30, 0x483, v113
	v_mov_b32_e32 v19, v23
	v_lshlrev_b64 v[16:17], 3, v[16:17]
	v_mov_b32_e32 v21, v18
	v_add_nc_u32_e32 v36, 0x596, v113
	v_add_co_u32 v12, s0, v14, v12
	v_mad_u64_u32 v[18:19], null, s21, v26, v[19:20]
	v_lshlrev_b64 v[19:20], 3, v[20:21]
	v_mov_b32_e32 v21, v25
	v_mad_u64_u32 v[26:27], null, s20, v30, 0
	v_add_co_ci_u32_e64 v13, s0, v15, v13, s0
	v_mad_u64_u32 v[28:29], null, s21, v28, v[21:22]
	v_add_co_u32 v16, s0, v14, v16
	v_mov_b32_e32 v23, v18
	v_add_co_ci_u32_e64 v17, s0, v15, v17, s0
	v_add_co_u32 v18, s0, v14, v19
	v_mov_b32_e32 v25, v28
	v_mad_u64_u32 v[28:29], null, s20, v36, 0
	v_add_co_ci_u32_e64 v19, s0, v15, v20, s0
	v_lshlrev_b64 v[20:21], 3, v[22:23]
	v_mov_b32_e32 v22, v27
	v_add_nc_u32_e32 v38, 0x6a9, v113
	v_add_nc_u32_e32 v115, 0x6e, v113
	;; [unrolled: 1-line block ×4, first 2 shown]
	v_mad_u64_u32 v[22:23], null, s21, v30, v[22:23]
	v_lshlrev_b64 v[23:24], 3, v[24:25]
	v_mov_b32_e32 v25, v29
	v_mad_u64_u32 v[30:31], null, s20, v38, 0
	v_add_co_u32 v20, s0, v14, v20
	v_mad_u64_u32 v[36:37], null, s21, v36, v[25:26]
	v_mov_b32_e32 v27, v22
	v_add_co_ci_u32_e64 v21, s0, v15, v21, s0
	v_add_co_u32 v22, s0, v14, v23
	v_add_co_ci_u32_e64 v23, s0, v15, v24, s0
	v_mov_b32_e32 v29, v36
	v_mad_u64_u32 v[36:37], null, s20, v115, 0
	v_lshlrev_b64 v[24:25], 3, v[26:27]
	v_mov_b32_e32 v26, v31
	v_add_nc_u32_e32 v46, 0x3a7, v113
	v_add_nc_u32_e32 v48, 0x4ba, v113
	;; [unrolled: 1-line block ×4, first 2 shown]
	v_mad_u64_u32 v[26:27], null, s21, v38, v[26:27]
	v_lshlrev_b64 v[27:28], 3, v[28:29]
	v_mov_b32_e32 v29, v37
	v_mad_u64_u32 v[38:39], null, s20, v42, 0
	v_add_co_u32 v24, s0, v14, v24
	v_mad_u64_u32 v[40:41], null, s21, v115, v[29:30]
	v_mov_b32_e32 v31, v26
	v_add_co_ci_u32_e64 v25, s0, v15, v25, s0
	v_add_co_u32 v26, s0, v14, v27
	v_add_co_ci_u32_e64 v27, s0, v15, v28, s0
	v_lshlrev_b64 v[28:29], 3, v[30:31]
	v_mov_b32_e32 v30, v39
	v_mov_b32_e32 v37, v40
	v_mad_u64_u32 v[40:41], null, s20, v44, 0
	v_add_nc_u32_e32 v116, 0xa5, v113
	v_mad_u64_u32 v[30:31], null, s21, v42, v[30:31]
	v_mad_u64_u32 v[42:43], null, s20, v46, 0
	v_add_nc_u32_e32 v56, 0x1b8, v113
	v_mov_b32_e32 v31, v41
	v_add_nc_u32_e32 v57, 0x2cb, v113
	v_add_nc_u32_e32 v60, 0x3de, v113
	v_mov_b32_e32 v39, v30
	v_lshlrev_b64 v[36:37], 3, v[36:37]
	v_mad_u64_u32 v[30:31], null, s21, v44, v[31:32]
	v_mov_b32_e32 v31, v43
	v_mad_u64_u32 v[44:45], null, s20, v48, 0
	v_mad_u64_u32 v[54:55], null, s20, v57, 0
	v_add_co_u32 v28, s0, v14, v28
	v_mov_b32_e32 v41, v30
	v_mad_u64_u32 v[30:31], null, s21, v46, v[31:32]
	v_mov_b32_e32 v31, v45
	v_mad_u64_u32 v[46:47], null, s20, v50, 0
	v_lshlrev_b64 v[38:39], 3, v[38:39]
	v_add_co_ci_u32_e64 v29, s0, v15, v29, s0
	v_mov_b32_e32 v43, v30
	v_mad_u64_u32 v[30:31], null, s21, v48, v[31:32]
	v_mov_b32_e32 v31, v47
	v_mad_u64_u32 v[48:49], null, s20, v52, 0
	v_add_co_u32 v36, s0, v14, v36
	v_lshlrev_b64 v[40:41], 3, v[40:41]
	v_mov_b32_e32 v45, v30
	v_mad_u64_u32 v[30:31], null, s21, v50, v[31:32]
	v_mov_b32_e32 v31, v49
	v_mad_u64_u32 v[50:51], null, s20, v116, 0
	v_add_nc_u32_e32 v62, 0x4f1, v113
	v_add_co_ci_u32_e64 v37, s0, v15, v37, s0
	v_mov_b32_e32 v47, v30
	v_mad_u64_u32 v[30:31], null, s21, v52, v[31:32]
	v_mov_b32_e32 v31, v51
	v_mad_u64_u32 v[52:53], null, s20, v56, 0
	v_add_co_u32 v38, s0, v14, v38
	v_lshlrev_b64 v[42:43], 3, v[42:43]
	v_mov_b32_e32 v49, v30
	v_mad_u64_u32 v[30:31], null, s21, v116, v[31:32]
	v_mov_b32_e32 v31, v53
	v_add_nc_u32_e32 v63, 0x604, v113
	v_add_co_ci_u32_e64 v39, s0, v15, v39, s0
	v_add_co_u32 v40, s0, v14, v40
	v_mov_b32_e32 v51, v30
	v_mad_u64_u32 v[30:31], null, s21, v56, v[31:32]
	v_mov_b32_e32 v31, v55
	v_lshlrev_b64 v[44:45], 3, v[44:45]
	v_mad_u64_u32 v[58:59], null, s20, v62, 0
	v_add_co_ci_u32_e64 v41, s0, v15, v41, s0
	v_mov_b32_e32 v53, v30
	v_mad_u64_u32 v[30:31], null, s21, v57, v[31:32]
	v_mad_u64_u32 v[56:57], null, s20, v60, 0
	v_add_co_u32 v42, s0, v14, v42
	v_lshlrev_b64 v[46:47], 3, v[46:47]
	v_add_co_ci_u32_e64 v43, s0, v15, v43, s0
	v_mov_b32_e32 v55, v30
	v_mov_b32_e32 v30, v57
	v_add_co_u32 v44, s0, v14, v44
	v_lshlrev_b64 v[48:49], 3, v[48:49]
	v_add_co_ci_u32_e64 v45, s0, v15, v45, s0
	v_mad_u64_u32 v[30:31], null, s21, v60, v[30:31]
	v_mad_u64_u32 v[60:61], null, s20, v63, 0
	v_mov_b32_e32 v31, v59
	v_add_co_u32 v46, s0, v14, v46
	v_lshlrev_b64 v[50:51], 3, v[50:51]
	v_add_co_ci_u32_e64 v47, s0, v15, v47, s0
	v_mov_b32_e32 v57, v30
	v_mov_b32_e32 v30, v61
	v_add_co_u32 v48, s0, v14, v48
	v_lshlrev_b64 v[52:53], 3, v[52:53]
	v_mad_u64_u32 v[61:62], null, s21, v62, v[31:32]
	v_add_co_ci_u32_e64 v49, s0, v15, v49, s0
	v_add_co_u32 v50, s0, v14, v50
	v_lshlrev_b64 v[54:55], 3, v[54:55]
	v_mad_u64_u32 v[30:31], null, s21, v63, v[30:31]
	v_add_co_ci_u32_e64 v51, s0, v15, v51, s0
	v_add_co_u32 v52, s0, v14, v52
	v_lshlrev_b64 v[56:57], 3, v[56:57]
	v_add_co_ci_u32_e64 v53, s0, v15, v53, s0
	v_add_co_u32 v54, s0, v14, v54
	v_mov_b32_e32 v59, v61
	v_add_nc_u32_e32 v62, 0x717, v113
	v_add_nc_u32_e32 v117, 0xdc, v113
	v_add_co_ci_u32_e64 v55, s0, v15, v55, s0
	v_add_co_u32 v63, s0, v14, v56
	v_mov_b32_e32 v61, v30
	v_add_nc_u32_e32 v71, 0x1ef, v113
	v_add_co_ci_u32_e64 v64, s0, v15, v57, s0
	v_lshlrev_b64 v[30:31], 3, v[58:59]
	v_mad_u64_u32 v[56:57], null, s20, v62, 0
	v_mad_u64_u32 v[58:59], null, s20, v117, 0
	v_lshlrev_b64 v[60:61], 3, v[60:61]
	v_mad_u64_u32 v[65:66], null, s20, v71, 0
	v_add_nc_u32_e32 v72, 0x302, v113
	v_add_co_u32 v30, s0, v14, v30
	v_mad_u64_u32 v[67:68], null, s21, v62, v[57:58]
	v_mad_u64_u32 v[68:69], null, s21, v117, v[59:60]
	;; [unrolled: 1-line block ×3, first 2 shown]
	v_mov_b32_e32 v59, v66
	v_add_co_ci_u32_e64 v31, s0, v15, v31, s0
	v_add_co_u32 v118, s0, v14, v60
	v_add_co_ci_u32_e64 v119, s0, v15, v61, s0
	v_mov_b32_e32 v57, v67
	v_mad_u64_u32 v[60:61], null, s21, v71, v[59:60]
	v_mov_b32_e32 v61, v70
	v_add_nc_u32_e32 v71, 0x415, v113
	v_lshlrev_b64 v[56:57], 3, v[56:57]
	v_mov_b32_e32 v59, v68
	v_mad_u64_u32 v[61:62], null, s21, v72, v[61:62]
	v_mov_b32_e32 v66, v60
	v_add_nc_u32_e32 v62, 0x528, v113
	v_add_co_u32 v120, s0, v14, v56
	v_mad_u64_u32 v[67:68], null, s20, v71, 0
	v_add_co_ci_u32_e64 v121, s0, v15, v57, s0
	v_lshlrev_b64 v[56:57], 3, v[65:66]
	v_mad_u64_u32 v[65:66], null, s20, v62, 0
	v_lshlrev_b64 v[58:59], 3, v[58:59]
	v_mov_b32_e32 v70, v61
	v_mov_b32_e32 v60, v68
	v_add_nc_u32_e32 v72, 0x74e, v113
	v_mov_b32_e32 v61, v66
	v_add_co_u32 v122, s0, v14, v58
	v_add_co_ci_u32_e64 v123, s0, v15, v59, s0
	v_lshlrev_b64 v[58:59], 3, v[69:70]
	v_mad_u64_u32 v[68:69], null, s21, v71, v[60:61]
	v_add_nc_u32_e32 v71, 0x63b, v113
	v_mad_u64_u32 v[60:61], null, s21, v62, v[61:62]
	v_mad_u64_u32 v[69:70], null, s20, v72, 0
	;; [unrolled: 1-line block ×3, first 2 shown]
	v_add_co_u32 v124, s0, v14, v56
	v_add_co_ci_u32_e64 v125, s0, v15, v57, s0
	v_mov_b32_e32 v57, v70
	v_mov_b32_e32 v66, v60
	;; [unrolled: 1-line block ×3, first 2 shown]
	v_lshlrev_b64 v[67:68], 3, v[67:68]
	v_add_co_u32 v126, s0, v14, v58
	v_add_co_ci_u32_e64 v127, s0, v15, v59, s0
	v_mad_u64_u32 v[70:71], null, s21, v71, v[56:57]
	v_mad_u64_u32 v[56:57], null, s21, v72, v[57:58]
	v_lshlrev_b64 v[57:58], 3, v[65:66]
	v_add_co_u32 v128, s0, v14, v67
	v_add_co_ci_u32_e64 v129, s0, v15, v68, s0
	v_mov_b32_e32 v62, v70
	v_mov_b32_e32 v70, v56
	v_add_co_u32 v130, s0, v14, v57
	v_add_co_ci_u32_e64 v131, s0, v15, v58, s0
	v_lshlrev_b64 v[59:60], 3, v[61:62]
	v_lshlrev_b64 v[56:57], 3, v[69:70]
	v_add_co_u32 v132, s0, v14, v59
	v_add_co_ci_u32_e64 v133, s0, v15, v60, s0
	v_add_co_u32 v14, s0, v14, v56
	v_add_co_ci_u32_e64 v15, s0, v15, v57, s0
	s_clause 0x22
	global_load_dwordx2 v[97:98], v[0:1], off
	global_load_dwordx2 v[93:94], v[2:3], off
	;; [unrolled: 1-line block ×35, first 2 shown]
.LBB0_13:
	s_or_b32 exec_lo, exec_lo, s1
	s_waitcnt vmcnt(28)
	v_add_f32_e32 v2, v111, v93
	v_add_f32_e32 v3, v109, v103
	;; [unrolled: 1-line block ×3, first 2 shown]
	v_sub_f32_e32 v6, v104, v110
	v_sub_f32_e32 v7, v106, v108
	v_sub_f32_e32 v4, v94, v112
	v_add_f32_e32 v8, v2, v3
	v_sub_f32_e32 v9, v3, v2
	v_sub_f32_e32 v2, v2, v5
	;; [unrolled: 1-line block ×3, first 2 shown]
	v_add_f32_e32 v10, v6, v7
	v_add_f32_e32 v5, v8, v5
	v_sub_f32_e32 v8, v7, v6
	v_sub_f32_e32 v7, v4, v7
	;; [unrolled: 1-line block ×3, first 2 shown]
	v_add_f32_e32 v4, v4, v10
	v_add_f32_e32 v10, v5, v97
	v_mul_f32_e32 v3, 0x3d64c772, v3
	v_mul_f32_e32 v8, 0x3f08b237, v8
	;; [unrolled: 1-line block ×4, first 2 shown]
	v_fmamk_f32 v5, v5, 0xbf955555, v10
	v_fmamk_f32 v2, v2, 0x3f4a47b2, v3
	v_fma_f32 v3, 0x3f3bfb3b, v9, -v3
	v_fma_f32 v6, 0xbf5ff5aa, v6, -v8
	v_fma_f32 v9, 0xbf3bfb3b, v9, -v11
	v_fmamk_f32 v8, v7, 0xbeae86e6, v8
	v_fma_f32 v7, 0x3eae86e6, v7, -v12
	v_add_f32_e32 v3, v3, v5
	v_fmac_f32_e32 v6, 0xbee1c552, v4
	v_add_f32_e32 v2, v2, v5
	v_add_f32_e32 v5, v9, v5
	v_fmac_f32_e32 v8, 0xbee1c552, v4
	v_fmac_f32_e32 v7, 0xbee1c552, v4
	v_sub_f32_e32 v4, v3, v6
	v_add_f32_e32 v3, v3, v6
	s_waitcnt vmcnt(21)
	v_add_f32_e32 v6, v99, v89
	v_add_f32_e32 v9, v95, v87
	v_sub_f32_e32 v11, v90, v100
	v_add_f32_e32 v12, v101, v91
	v_sub_f32_e32 v13, v88, v96
	v_sub_f32_e32 v14, v92, v102
	v_add_f32_e32 v15, v6, v9
	v_sub_f32_e32 v16, v9, v6
	v_sub_f32_e32 v6, v6, v12
	;; [unrolled: 1-line block ×3, first 2 shown]
	v_add_f32_e32 v17, v13, v14
	v_sub_f32_e32 v18, v14, v13
	v_add_f32_e32 v12, v15, v12
	v_sub_f32_e32 v13, v13, v11
	v_sub_f32_e32 v14, v11, v14
	v_mul_f32_e32 v9, 0x3d64c772, v9
	v_add_f32_e32 v11, v11, v17
	v_mul_f32_e32 v15, 0x3f4a47b2, v6
	v_add_f32_e32 v17, v12, v83
	v_mul_f32_e32 v18, 0x3f08b237, v18
	v_mul_f32_e32 v19, 0xbf5ff5aa, v13
	v_fmamk_f32 v6, v6, 0x3f4a47b2, v9
	v_fma_f32 v9, 0x3f3bfb3b, v16, -v9
	v_fma_f32 v15, 0xbf3bfb3b, v16, -v15
	v_fmamk_f32 v12, v12, 0xbf955555, v17
	v_fma_f32 v13, 0xbf5ff5aa, v13, -v18
	v_fmamk_f32 v16, v14, 0xbeae86e6, v18
	v_fma_f32 v14, 0x3eae86e6, v14, -v19
	v_add_f32_e32 v18, v2, v8
	v_add_f32_e32 v6, v6, v12
	;; [unrolled: 1-line block ×4, first 2 shown]
	v_fmac_f32_e32 v14, 0xbee1c552, v11
	v_fmac_f32_e32 v13, 0xbee1c552, v11
	v_add_f32_e32 v15, v5, v7
	v_fmac_f32_e32 v16, 0xbee1c552, v11
	v_sub_f32_e32 v5, v5, v7
	v_sub_f32_e32 v2, v2, v8
	v_add_f32_e32 v8, v12, v14
	v_sub_f32_e32 v11, v9, v13
	v_add_f32_e32 v9, v9, v13
	v_mad_u32_u24 v83, v113, 28, 0
	v_sub_f32_e32 v12, v12, v14
	s_waitcnt vmcnt(14)
	v_add_f32_e32 v13, v85, v75
	v_add_f32_e32 v14, v81, v73
	v_add_f32_e32 v7, v6, v16
	v_sub_f32_e32 v6, v6, v16
	ds_write2_b32 v83, v10, v18 offset1:1
	v_sub_f32_e32 v10, v76, v86
	v_sub_f32_e32 v16, v74, v82
	ds_write2_b32 v83, v15, v4 offset0:2 offset1:3
	v_add_f32_e32 v4, v79, v77
	v_add_f32_e32 v15, v13, v14
	ds_write2_b32 v83, v3, v5 offset0:4 offset1:5
	v_sub_f32_e32 v3, v78, v80
	v_sub_f32_e32 v5, v14, v13
	v_sub_f32_e32 v13, v13, v4
	v_sub_f32_e32 v14, v4, v14
	v_add_f32_e32 v4, v15, v4
	v_add_f32_e32 v15, v16, v3
	v_sub_f32_e32 v18, v3, v16
	v_sub_f32_e32 v16, v16, v10
	;; [unrolled: 1-line block ×3, first 2 shown]
	v_mul_f32_e32 v14, 0x3d64c772, v14
	v_add_f32_e32 v10, v10, v15
	v_mul_f32_e32 v15, 0x3f4a47b2, v13
	v_add_f32_e32 v19, v4, v71
	v_mul_f32_e32 v18, 0x3f08b237, v18
	v_mul_f32_e32 v20, 0xbf5ff5aa, v16
	v_fmamk_f32 v13, v13, 0x3f4a47b2, v14
	v_fma_f32 v14, 0x3f3bfb3b, v5, -v14
	v_fmamk_f32 v4, v4, 0xbf955555, v19
	v_fma_f32 v16, 0xbf5ff5aa, v16, -v18
	v_fma_f32 v5, 0xbf3bfb3b, v5, -v15
	v_fmamk_f32 v15, v3, 0xbeae86e6, v18
	v_fma_f32 v3, 0x3eae86e6, v3, -v20
	v_add_f32_e32 v14, v14, v4
	v_fmac_f32_e32 v16, 0xbee1c552, v10
	v_add_f32_e32 v13, v13, v4
	v_add_f32_e32 v4, v5, v4
	v_fmac_f32_e32 v3, 0xbee1c552, v10
	v_mad_i32_i24 v71, v114, 28, 0
	v_fmac_f32_e32 v15, 0xbee1c552, v10
	v_sub_f32_e32 v5, v14, v16
	v_add_f32_e32 v10, v14, v16
	v_add_f32_e32 v14, v4, v3
	v_sub_f32_e32 v3, v4, v3
	ds_write_b32 v83, v2 offset:24
	ds_write2_b32 v71, v17, v7 offset1:1
	s_waitcnt vmcnt(7)
	v_add_f32_e32 v4, v69, v61
	v_add_f32_e32 v7, v67, v59
	;; [unrolled: 1-line block ×3, first 2 shown]
	v_sub_f32_e32 v13, v13, v15
	v_sub_f32_e32 v15, v60, v68
	ds_write2_b32 v71, v8, v11 offset0:2 offset1:3
	v_add_f32_e32 v8, v65, v63
	v_add_f32_e32 v11, v4, v7
	ds_write2_b32 v71, v9, v12 offset0:4 offset1:5
	v_sub_f32_e32 v9, v64, v66
	v_sub_f32_e32 v16, v62, v70
	;; [unrolled: 1-line block ×5, first 2 shown]
	v_add_f32_e32 v8, v11, v8
	v_add_f32_e32 v11, v15, v9
	v_sub_f32_e32 v17, v9, v15
	v_sub_f32_e32 v15, v15, v16
	;; [unrolled: 1-line block ×3, first 2 shown]
	v_mul_f32_e32 v7, 0x3d64c772, v7
	v_add_f32_e32 v11, v16, v11
	v_mul_f32_e32 v16, 0x3f4a47b2, v4
	v_add_f32_e32 v18, v8, v57
	v_mul_f32_e32 v17, 0x3f08b237, v17
	v_mul_f32_e32 v20, 0xbf5ff5aa, v15
	v_fmamk_f32 v4, v4, 0x3f4a47b2, v7
	v_fma_f32 v7, 0x3f3bfb3b, v12, -v7
	v_fmamk_f32 v8, v8, 0xbf955555, v18
	v_fma_f32 v15, 0xbf5ff5aa, v15, -v17
	v_fma_f32 v12, 0xbf3bfb3b, v12, -v16
	v_fma_f32 v16, 0x3eae86e6, v9, -v20
	v_fmamk_f32 v9, v9, 0xbeae86e6, v17
	v_mad_i32_i24 v121, v115, 28, 0
	v_add_f32_e32 v7, v7, v8
	v_fmac_f32_e32 v15, 0xbee1c552, v11
	v_add_f32_e32 v4, v4, v8
	v_fmac_f32_e32 v9, 0xbee1c552, v11
	ds_write_b32 v71, v6 offset:24
	ds_write2_b32 v121, v19, v2 offset1:1
	s_waitcnt vmcnt(0)
	v_add_f32_e32 v2, v55, v49
	ds_write2_b32 v121, v14, v5 offset0:2 offset1:3
	v_add_f32_e32 v5, v53, v47
	v_add_f32_e32 v12, v12, v8
	v_sub_f32_e32 v8, v7, v15
	v_add_f32_e32 v7, v7, v15
	v_add_f32_e32 v15, v4, v9
	v_sub_f32_e32 v9, v4, v9
	v_sub_f32_e32 v4, v50, v56
	ds_write2_b32 v121, v10, v3 offset0:4 offset1:5
	v_mad_i32_i24 v57, v116, 28, 0
	v_sub_f32_e32 v3, v48, v54
	v_add_f32_e32 v6, v0, v51
	ds_write_b32 v121, v13 offset:24
	v_add_f32_e32 v10, v2, v5
	v_sub_f32_e32 v13, v52, v1
	v_fmac_f32_e32 v16, 0xbee1c552, v11
	ds_write2_b32 v57, v18, v15 offset1:1
	v_sub_f32_e32 v14, v5, v2
	v_sub_f32_e32 v2, v2, v6
	;; [unrolled: 1-line block ×3, first 2 shown]
	v_add_f32_e32 v6, v10, v6
	v_add_f32_e32 v10, v3, v13
	v_sub_f32_e32 v15, v13, v3
	v_sub_f32_e32 v3, v3, v4
	v_add_f32_e32 v11, v12, v16
	v_sub_f32_e32 v12, v12, v16
	v_sub_f32_e32 v13, v4, v13
	v_mul_f32_e32 v5, 0x3d64c772, v5
	v_add_f32_e32 v4, v4, v10
	v_mul_f32_e32 v10, 0x3f4a47b2, v2
	v_add_f32_e32 v16, v6, v45
	v_mul_f32_e32 v15, 0x3f08b237, v15
	v_mul_f32_e32 v17, 0xbf5ff5aa, v3
	v_fmamk_f32 v2, v2, 0x3f4a47b2, v5
	v_fma_f32 v5, 0x3f3bfb3b, v14, -v5
	v_fmamk_f32 v6, v6, 0xbf955555, v16
	v_fma_f32 v10, 0xbf3bfb3b, v14, -v10
	v_fma_f32 v3, 0xbf5ff5aa, v3, -v15
	v_fmamk_f32 v14, v13, 0xbeae86e6, v15
	v_fma_f32 v13, 0x3eae86e6, v13, -v17
	v_add_f32_e32 v2, v2, v6
	v_add_f32_e32 v5, v5, v6
	v_fmac_f32_e32 v3, 0xbee1c552, v4
	v_add_f32_e32 v6, v10, v6
	v_fmac_f32_e32 v13, 0xbee1c552, v4
	v_fmac_f32_e32 v14, 0xbee1c552, v4
	v_mad_i32_i24 v97, 0xffffffe8, v113, v83
	v_sub_f32_e32 v10, v5, v3
	v_add_f32_e32 v3, v5, v3
	v_add_f32_e32 v5, v6, v13
	v_sub_f32_e32 v118, v6, v13
	v_add_f32_e32 v6, v2, v14
	v_mad_i32_i24 v13, v117, 28, 0
	v_sub_f32_e32 v4, v2, v14
	v_mad_i32_i24 v2, 0xffffffe8, v115, v121
	s_load_dwordx2 s[4:5], s[4:5], 0x0
	ds_write2_b32 v57, v11, v8 offset0:2 offset1:3
	ds_write2_b32 v57, v7, v12 offset0:4 offset1:5
	ds_write_b32 v57, v9 offset:24
	ds_write2_b32 v13, v16, v6 offset1:1
	ds_write2_b32 v13, v5, v10 offset0:2 offset1:3
	ds_write2_b32 v13, v3, v118 offset0:4 offset1:5
	v_mad_i32_i24 v3, 0xffffffe8, v114, v71
	v_add_nc_u32_e32 v124, 0x400, v97
	ds_write_b32 v13, v4 offset:24
	s_waitcnt lgkmcnt(0)
	s_barrier
	buffer_gl0_inv
	v_add_nc_u32_e32 v125, 0x600, v97
	v_add_nc_u32_e32 v123, 0x800, v97
	v_add_nc_u32_e32 v126, 0xc00, v97
	v_add_nc_u32_e32 v129, 0x1000, v97
	v_add_nc_u32_e32 v127, 0x1400, v97
	v_add_nc_u32_e32 v131, 0x1600, v97
	v_add_nc_u32_e32 v132, 0x1a00, v97
	v_add_nc_u32_e32 v130, 0x200, v97
	v_add_nc_u32_e32 v128, 0x1800, v97
	ds_read_b32 v119, v2
	ds_read_b32 v120, v3
	ds_read_b32 v122, v97 offset:7440
	ds_read2_b32 v[2:3], v97 offset1:175
	ds_read2_b32 v[6:7], v124 offset0:94 offset1:149
	ds_read2_b32 v[8:9], v125 offset0:76 offset1:141
	;; [unrolled: 1-line block ×12, first 2 shown]
	ds_read2_b32 v[38:39], v127 offset1:55
	ds_read2_b32 v[44:45], v128 offset0:94 offset1:149
	v_mul_i32_i24_e32 v135, 28, v117
	v_cmp_gt_u32_e64 s0, 10, v113
	v_mul_i32_i24_e32 v134, 0xffffffe8, v114
	v_mul_i32_i24_e32 v133, 0xffffffe8, v115
                                        ; implicit-def: $vgpr24
                                        ; implicit-def: $vgpr20
                                        ; implicit-def: $vgpr17
                                        ; implicit-def: $vgpr23
	s_and_saveexec_b32 s1, s0
	s_cbranch_execz .LBB0_15
; %bb.14:
	v_mad_i32_i24 v4, 0xffffffe8, v116, v57
	v_add_nc_u32_e32 v5, 0x500, v97
	v_add_nc_u32_e32 v16, 0xa00, v97
	;; [unrolled: 1-line block ×3, first 2 shown]
	ds_read_b32 v118, v4
	ds_read2_b32 v[4:5], v5 offset0:20 offset1:195
	ds_read2_b32 v[24:25], v16 offset0:50 offset1:225
	;; [unrolled: 1-line block ×5, first 2 shown]
.LBB0_15:
	s_or_b32 exec_lo, exec_lo, s1
	v_add_f32_e32 v94, v112, v94
	v_add_f32_e32 v104, v110, v104
	v_add_f32_e32 v62, v70, v62
	v_add_f32_e32 v60, v68, v60
	v_add_f32_e32 v90, v100, v90
	v_add_f32_e32 v88, v96, v88
	v_add_f32_e32 v76, v86, v76
	v_add_f32_e32 v74, v82, v74
	v_add_f32_e32 v50, v56, v50
	v_add_f32_e32 v48, v54, v48
	v_add_f32_e32 v106, v108, v106
	v_sub_f32_e32 v103, v103, v109
	v_sub_f32_e32 v105, v105, v107
	v_add_f32_e32 v107, v94, v104
	v_add_f32_e32 v64, v66, v64
	v_sub_f32_e32 v59, v59, v67
	v_sub_f32_e32 v63, v63, v65
	v_add_f32_e32 v65, v62, v60
	v_sub_f32_e32 v93, v93, v111
	v_sub_f32_e32 v61, v61, v69
	;; [unrolled: 1-line block ×3, first 2 shown]
	v_add_f32_e32 v92, v102, v92
	v_sub_f32_e32 v87, v87, v95
	v_sub_f32_e32 v91, v91, v101
	v_add_f32_e32 v95, v90, v88
	v_add_f32_e32 v78, v80, v78
	v_sub_f32_e32 v73, v73, v81
	v_sub_f32_e32 v77, v77, v79
	v_add_f32_e32 v79, v76, v74
	v_sub_f32_e32 v49, v49, v55
	v_add_f32_e32 v1, v1, v52
	v_sub_f32_e32 v47, v47, v53
	v_sub_f32_e32 v0, v51, v0
	v_add_f32_e32 v51, v50, v48
	v_sub_f32_e32 v108, v104, v94
	v_sub_f32_e32 v94, v94, v106
	;; [unrolled: 1-line block ×3, first 2 shown]
	v_add_f32_e32 v109, v103, v105
	v_add_f32_e32 v106, v107, v106
	v_sub_f32_e32 v107, v105, v103
	v_sub_f32_e32 v75, v75, v85
	;; [unrolled: 1-line block ×5, first 2 shown]
	v_add_f32_e32 v67, v59, v63
	v_add_f32_e32 v64, v65, v64
	v_sub_f32_e32 v65, v63, v59
	v_sub_f32_e32 v103, v103, v93
	;; [unrolled: 1-line block ×6, first 2 shown]
	v_add_f32_e32 v99, v87, v91
	v_add_f32_e32 v92, v95, v92
	v_sub_f32_e32 v95, v91, v87
	v_sub_f32_e32 v87, v87, v89
	v_sub_f32_e32 v80, v74, v76
	v_sub_f32_e32 v76, v76, v78
	v_sub_f32_e32 v74, v78, v74
	v_add_f32_e32 v81, v73, v77
	v_add_f32_e32 v78, v79, v78
	v_sub_f32_e32 v79, v77, v73
	v_sub_f32_e32 v52, v48, v50
	v_sub_f32_e32 v50, v50, v1
	v_sub_f32_e32 v48, v1, v48
	v_add_f32_e32 v53, v47, v0
	v_add_f32_e32 v1, v51, v1
	v_sub_f32_e32 v51, v0, v47
	v_sub_f32_e32 v47, v47, v49
	;; [unrolled: 1-line block ×3, first 2 shown]
	v_add_f32_e32 v93, v93, v109
	v_add_f32_e32 v98, v106, v98
	v_mul_f32_e32 v104, 0x3d64c772, v104
	v_mul_f32_e32 v109, 0x3f4a47b2, v94
	;; [unrolled: 1-line block ×3, first 2 shown]
	v_sub_f32_e32 v73, v73, v75
	v_sub_f32_e32 v63, v61, v63
	v_add_f32_e32 v61, v61, v67
	v_add_f32_e32 v58, v64, v58
	v_mul_f32_e32 v60, 0x3d64c772, v60
	v_mul_f32_e32 v67, 0x3f4a47b2, v62
	;; [unrolled: 1-line block ×5, first 2 shown]
	v_sub_f32_e32 v91, v89, v91
	v_add_f32_e32 v89, v89, v99
	v_add_f32_e32 v84, v92, v84
	v_mul_f32_e32 v88, 0x3d64c772, v88
	v_mul_f32_e32 v99, 0x3f4a47b2, v90
	;; [unrolled: 1-line block ×4, first 2 shown]
	v_sub_f32_e32 v77, v75, v77
	v_add_f32_e32 v75, v75, v81
	v_add_f32_e32 v72, v78, v72
	v_mul_f32_e32 v74, 0x3d64c772, v74
	v_mul_f32_e32 v81, 0x3f4a47b2, v76
	;; [unrolled: 1-line block ×3, first 2 shown]
	v_sub_f32_e32 v0, v49, v0
	v_add_f32_e32 v49, v49, v53
	v_add_f32_e32 v53, v1, v46
	v_mul_f32_e32 v46, 0x3d64c772, v48
	v_mul_f32_e32 v48, 0x3f4a47b2, v50
	;; [unrolled: 1-line block ×4, first 2 shown]
	v_fmamk_f32 v106, v106, 0xbf955555, v98
	v_fmamk_f32 v94, v94, 0x3f4a47b2, v104
	v_fma_f32 v104, 0x3f3bfb3b, v108, -v104
	v_fma_f32 v108, 0xbf3bfb3b, v108, -v109
	v_fmamk_f32 v109, v105, 0xbeae86e6, v107
	v_mul_f32_e32 v82, 0xbf5ff5aa, v73
	v_fmamk_f32 v64, v64, 0xbf955555, v58
	v_fmamk_f32 v62, v62, 0x3f4a47b2, v60
	v_fma_f32 v60, 0x3f3bfb3b, v66, -v60
	v_fma_f32 v66, 0xbf3bfb3b, v66, -v67
	v_fmamk_f32 v67, v63, 0xbeae86e6, v65
	v_fma_f32 v103, 0xbf5ff5aa, v103, -v107
	v_fma_f32 v105, 0x3eae86e6, v105, -v110
	;; [unrolled: 1-line block ×4, first 2 shown]
	v_fmamk_f32 v92, v92, 0xbf955555, v84
	v_fmamk_f32 v90, v90, 0x3f4a47b2, v88
	v_fma_f32 v88, 0x3f3bfb3b, v96, -v88
	v_fma_f32 v96, 0xbf3bfb3b, v96, -v99
	v_fmamk_f32 v99, v91, 0xbeae86e6, v95
	v_fma_f32 v87, 0xbf5ff5aa, v87, -v95
	v_fma_f32 v91, 0x3eae86e6, v91, -v100
	v_fmamk_f32 v78, v78, 0xbf955555, v72
	v_fmamk_f32 v76, v76, 0x3f4a47b2, v74
	v_fma_f32 v74, 0x3f3bfb3b, v80, -v74
	v_fma_f32 v80, 0xbf3bfb3b, v80, -v81
	v_fmamk_f32 v81, v77, 0xbeae86e6, v79
	v_fma_f32 v73, 0xbf5ff5aa, v73, -v79
	v_fmamk_f32 v1, v1, 0xbf955555, v53
	v_fmamk_f32 v50, v50, 0x3f4a47b2, v46
	v_fma_f32 v46, 0x3f3bfb3b, v52, -v46
	v_fma_f32 v48, 0xbf3bfb3b, v52, -v48
	v_fmamk_f32 v52, v0, 0xbeae86e6, v51
	v_fma_f32 v0, 0x3eae86e6, v0, -v54
	v_add_f32_e32 v94, v94, v106
	v_fmac_f32_e32 v109, 0xbee1c552, v93
	v_fma_f32 v77, 0x3eae86e6, v77, -v82
	v_add_f32_e32 v62, v62, v64
	v_fmac_f32_e32 v67, 0xbee1c552, v61
	v_fma_f32 v47, 0xbf5ff5aa, v47, -v51
	v_add_f32_e32 v104, v104, v106
	v_add_f32_e32 v106, v108, v106
	v_fmac_f32_e32 v105, 0xbee1c552, v93
	v_fmac_f32_e32 v103, 0xbee1c552, v93
	v_add_f32_e32 v60, v60, v64
	v_add_f32_e32 v64, v66, v64
	v_fmac_f32_e32 v63, 0xbee1c552, v61
	v_fmac_f32_e32 v59, 0xbee1c552, v61
	v_add_f32_e32 v90, v90, v92
	v_add_f32_e32 v88, v88, v92
	;; [unrolled: 1-line block ×3, first 2 shown]
	v_fmac_f32_e32 v99, 0xbee1c552, v89
	v_fmac_f32_e32 v91, 0xbee1c552, v89
	;; [unrolled: 1-line block ×3, first 2 shown]
	v_add_f32_e32 v76, v76, v78
	v_add_f32_e32 v74, v74, v78
	v_fmac_f32_e32 v81, 0xbee1c552, v75
	v_fmac_f32_e32 v73, 0xbee1c552, v75
	v_add_f32_e32 v50, v50, v1
	v_add_f32_e32 v46, v46, v1
	;; [unrolled: 1-line block ×3, first 2 shown]
	v_fmac_f32_e32 v52, 0xbee1c552, v49
	v_fmac_f32_e32 v0, 0xbee1c552, v49
	v_sub_f32_e32 v93, v94, v109
	v_add_f32_e32 v78, v80, v78
	v_fmac_f32_e32 v77, 0xbee1c552, v75
	v_sub_f32_e32 v66, v62, v67
	v_fmac_f32_e32 v47, 0xbee1c552, v49
	v_sub_f32_e32 v107, v106, v105
	v_add_f32_e32 v108, v103, v104
	v_sub_f32_e32 v68, v64, v63
	v_add_f32_e32 v69, v59, v60
	;; [unrolled: 2-line block ×4, first 2 shown]
	v_add_f32_e32 v94, v109, v94
	v_add_f32_e32 v49, v67, v62
	v_sub_f32_e32 v95, v90, v99
	v_add_f32_e32 v100, v87, v88
	v_sub_f32_e32 v87, v88, v87
	v_add_f32_e32 v75, v91, v92
	v_add_f32_e32 v79, v99, v90
	v_sub_f32_e32 v80, v76, v81
	v_add_f32_e32 v85, v73, v74
	v_sub_f32_e32 v73, v74, v73
	v_sub_f32_e32 v51, v50, v52
	;; [unrolled: 1-line block ×3, first 2 shown]
	v_add_f32_e32 v88, v0, v1
	v_add_nc_u32_e32 v0, 0, v135
	v_sub_f32_e32 v96, v92, v91
	v_sub_f32_e32 v82, v78, v77
	v_add_f32_e32 v61, v77, v78
	v_add_f32_e32 v65, v81, v76
	;; [unrolled: 1-line block ×3, first 2 shown]
	v_sub_f32_e32 v47, v46, v47
	v_add_f32_e32 v46, v52, v50
	s_waitcnt lgkmcnt(0)
	s_barrier
	buffer_gl0_inv
	ds_write2_b32 v83, v98, v93 offset1:1
	ds_write2_b32 v83, v107, v108 offset0:2 offset1:3
	ds_write2_b32 v83, v103, v89 offset0:4 offset1:5
	ds_write_b32 v83, v94 offset:24
	ds_write2_b32 v71, v84, v95 offset1:1
	ds_write2_b32 v71, v96, v100 offset0:2 offset1:3
	ds_write2_b32 v71, v87, v75 offset0:4 offset1:5
	ds_write_b32 v71, v79 offset:24
	;; [unrolled: 4-line block ×5, first 2 shown]
	s_waitcnt lgkmcnt(0)
	s_barrier
	buffer_gl0_inv
	ds_read2_b32 v[0:1], v97 offset1:175
	ds_read2_b32 v[48:49], v124 offset0:94 offset1:149
	ds_read2_b32 v[50:51], v125 offset0:76 offset1:141
	;; [unrolled: 1-line block ×9, first 2 shown]
	v_add_nc_u32_e32 v85, v121, v133
	v_add_nc_u32_e32 v84, v71, v134
	ds_read2_b32 v[54:55], v130 offset0:102 offset1:157
	ds_read2_b32 v[60:61], v123 offset0:68 offset1:123
	;; [unrolled: 1-line block ×3, first 2 shown]
	ds_read2_b32 v[76:77], v127 offset1:55
	ds_read2_b32 v[82:83], v128 offset0:94 offset1:149
	ds_read_b32 v92, v85
	ds_read_b32 v93, v84
	ds_read_b32 v95, v97 offset:7440
	v_lshl_add_u32 v86, v116, 2, 0
                                        ; implicit-def: $vgpr66
                                        ; implicit-def: $vgpr62
                                        ; implicit-def: $vgpr59
                                        ; implicit-def: $vgpr65
	s_and_saveexec_b32 s1, s0
	s_cbranch_execz .LBB0_17
; %bb.16:
	v_add_nc_u32_e32 v46, 0x500, v97
	v_add_nc_u32_e32 v58, 0xa00, v97
	;; [unrolled: 1-line block ×5, first 2 shown]
	ds_read_b32 v88, v86
	ds_read2_b32 v[46:47], v46 offset0:20 offset1:195
	ds_read2_b32 v[66:67], v58 offset0:50 offset1:225
	;; [unrolled: 1-line block ×5, first 2 shown]
.LBB0_17:
	s_or_b32 exec_lo, exec_lo, s1
	v_and_b32_e32 v89, 0xff, v113
	v_and_b32_e32 v90, 0xff, v114
	v_and_b32_e32 v87, 0xff, v115
	v_mul_lo_u16 v89, v89, 37
	v_mul_lo_u16 v90, v90, 37
	;; [unrolled: 1-line block ×3, first 2 shown]
	v_lshrrev_b16 v89, 8, v89
	v_lshrrev_b16 v90, 8, v90
	;; [unrolled: 1-line block ×3, first 2 shown]
	v_sub_nc_u16 v94, v113, v89
	v_sub_nc_u16 v96, v114, v90
	;; [unrolled: 1-line block ×3, first 2 shown]
	v_lshrrev_b16 v94, 1, v94
	v_lshrrev_b16 v96, 1, v96
	;; [unrolled: 1-line block ×3, first 2 shown]
	v_and_b32_e32 v94, 0x7f, v94
	v_and_b32_e32 v96, 0x7f, v96
	;; [unrolled: 1-line block ×3, first 2 shown]
	v_add_nc_u16 v89, v94, v89
	v_add_nc_u16 v90, v96, v90
	;; [unrolled: 1-line block ×3, first 2 shown]
	v_mov_b32_e32 v94, 10
	v_lshrrev_b16 v133, 2, v89
	v_lshrrev_b16 v130, 2, v90
	v_lshrrev_b16 v128, 2, v91
	v_mul_lo_u16 v89, v133, 7
	v_mul_lo_u16 v90, v130, 7
	;; [unrolled: 1-line block ×3, first 2 shown]
	v_sub_nc_u16 v135, v113, v89
	v_sub_nc_u16 v132, v114, v90
	;; [unrolled: 1-line block ×3, first 2 shown]
	v_mul_u32_u24_sdwa v89, v135, v94 dst_sel:DWORD dst_unused:UNUSED_PAD src0_sel:BYTE_0 src1_sel:DWORD
	v_mul_u32_u24_sdwa v90, v132, v94 dst_sel:DWORD dst_unused:UNUSED_PAD src0_sel:BYTE_0 src1_sel:DWORD
	;; [unrolled: 1-line block ×3, first 2 shown]
	v_lshlrev_b32_e32 v96, 3, v89
	v_and_b32_e32 v89, 0xff, v116
	v_lshlrev_b32_e32 v98, 3, v90
	v_lshlrev_b32_e32 v99, 3, v91
	s_clause 0x5
	global_load_dwordx4 v[138:141], v96, s[12:13] offset:48
	global_load_dwordx4 v[142:145], v98, s[12:13] offset:48
	;; [unrolled: 1-line block ×6, first 2 shown]
	v_mul_lo_u16 v90, v89, 37
	s_clause 0x4
	global_load_dwordx4 v[150:153], v98, s[12:13] offset:32
	global_load_dwordx4 v[154:157], v99, s[12:13] offset:32
	;; [unrolled: 1-line block ×5, first 2 shown]
	v_lshrrev_b16 v90, 8, v90
	s_clause 0x3
	global_load_dwordx4 v[170:173], v96, s[12:13] offset:16
	global_load_dwordx4 v[174:177], v96, s[12:13]
	global_load_dwordx4 v[178:181], v99, s[12:13]
	;; [unrolled: 1-line block ×3, first 2 shown]
	v_sub_nc_u16 v91, v116, v90
	v_lshrrev_b16 v91, 1, v91
	v_and_b32_e32 v91, 0x7f, v91
	v_add_nc_u16 v90, v91, v90
	v_lshrrev_b16 v90, 2, v90
	v_mul_lo_u16 v91, v90, 7
	v_sub_nc_u16 v91, v116, v91
	v_mul_u32_u24_sdwa v94, v91, v94 dst_sel:DWORD dst_unused:UNUSED_PAD src0_sel:BYTE_0 src1_sel:DWORD
	v_lshlrev_b32_e32 v94, 3, v94
	s_clause 0x4
	global_load_dwordx4 v[186:189], v94, s[12:13]
	global_load_dwordx4 v[190:193], v94, s[12:13] offset:16
	global_load_dwordx4 v[194:197], v94, s[12:13] offset:32
	;; [unrolled: 1-line block ×4, first 2 shown]
	s_waitcnt vmcnt(0) lgkmcnt(0)
	s_barrier
	buffer_gl0_inv
	v_mul_f32_e32 v112, v73, v139
	v_mul_f32_e32 v139, v31, v139
	;; [unrolled: 1-line block ×7, first 2 shown]
	v_fmac_f32_e32 v99, v122, v106
	v_fma_f32 v98, v95, v106, -v96
	v_mul_f32_e32 v106, v82, v109
	v_mul_f32_e32 v95, v44, v109
	;; [unrolled: 1-line block ×5, first 2 shown]
	v_fmac_f32_e32 v106, v44, v108
	v_mul_f32_e32 v44, v43, v111
	v_fma_f32 v107, v82, v108, -v95
	v_mul_f32_e32 v95, v41, v124
	v_fmac_f32_e32 v137, v3, v174
	v_mul_f32_e32 v122, v38, v143
	v_fma_f32 v108, v81, v110, -v44
	v_mul_f32_e32 v44, v42, v126
	v_mul_f32_e32 v81, v71, v155
	v_fmac_f32_e32 v94, v45, v104
	v_fma_f32 v96, v83, v104, -v100
	v_mul_f32_e32 v83, v77, v147
	v_fma_f32 v124, v80, v125, -v44
	v_mul_f32_e32 v44, v29, v155
	v_fmac_f32_e32 v81, v29, v154
	v_mul_f32_e32 v104, v39, v147
	v_mul_f32_e32 v82, v78, v149
	v_mul_f32_e32 v134, v80, v126
	v_fma_f32 v29, v71, v154, -v44
	v_fmac_f32_e32 v109, v43, v110
	v_mul_f32_e32 v43, v40, v149
	v_mul_f32_e32 v147, v3, v175
	;; [unrolled: 1-line block ×3, first 2 shown]
	v_fmac_f32_e32 v136, v6, v176
	v_mul_f32_e32 v121, v74, v141
	v_mul_f32_e32 v127, v36, v141
	;; [unrolled: 1-line block ×3, first 2 shown]
	v_fmac_f32_e32 v134, v42, v125
	v_mul_f32_e32 v100, v70, v151
	v_mul_f32_e32 v42, v28, v151
	v_fmac_f32_e32 v129, v41, v123
	v_fma_f32 v125, v79, v123, -v95
	v_mul_f32_e32 v79, v72, v157
	v_mul_f32_e32 v41, v30, v157
	;; [unrolled: 1-line block ×4, first 2 shown]
	v_fmac_f32_e32 v82, v40, v148
	v_mul_f32_e32 v110, v68, v161
	v_mul_f32_e32 v40, v26, v161
	v_fma_f32 v80, v78, v148, -v43
	v_fma_f32 v78, v77, v146, -v104
	;; [unrolled: 1-line block ×3, first 2 shown]
	v_mul_f32_e32 v122, v52, v173
	v_mul_f32_e32 v71, v46, v187
	;; [unrolled: 1-line block ×3, first 2 shown]
	v_fmac_f32_e32 v112, v31, v138
	v_fma_f32 v123, v73, v138, -v139
	v_mul_f32_e32 v138, v6, v177
	v_fmac_f32_e32 v71, v4, v186
	v_add_f32_e32 v4, v2, v137
	v_mul_f32_e32 v73, v54, v183
	v_mul_f32_e32 v31, v55, v179
	v_fmac_f32_e32 v126, v9, v170
	v_fma_f32 v1, v1, v174, -v147
	v_add_f32_e32 v4, v4, v136
	v_mul_f32_e32 v103, v75, v145
	v_mul_f32_e32 v102, v76, v143
	;; [unrolled: 1-line block ×8, first 2 shown]
	v_fma_f32 v75, v75, v144, -v45
	v_mul_f32_e32 v148, v9, v171
	v_fmac_f32_e32 v79, v30, v156
	v_mul_f32_e32 v149, v11, v179
	v_fma_f32 v30, v72, v156, -v41
	v_mul_f32_e32 v72, v49, v185
	v_mul_f32_e32 v45, v47, v189
	v_fmac_f32_e32 v100, v28, v150
	v_fma_f32 v28, v70, v150, -v42
	v_fmac_f32_e32 v101, v27, v152
	v_fma_f32 v27, v69, v152, -v141
	v_mul_f32_e32 v141, v20, v195
	v_mul_f32_e32 v150, v21, v197
	v_fmac_f32_e32 v110, v26, v160
	v_fma_f32 v26, v68, v160, -v40
	v_mul_f32_e32 v68, v59, v205
	v_fmac_f32_e32 v122, v12, v172
	v_fmac_f32_e32 v31, v11, v178
	;; [unrolled: 1-line block ×3, first 2 shown]
	v_fma_f32 v6, v48, v176, -v138
	v_sub_f32_e32 v11, v1, v124
	v_add_f32_e32 v4, v4, v126
	v_fmac_f32_e32 v83, v39, v146
	v_mul_f32_e32 v105, v60, v167
	v_mul_f32_e32 v146, v18, v167
	v_fmac_f32_e32 v103, v37, v144
	v_mul_f32_e32 v144, v12, v173
	v_fmac_f32_e32 v121, v36, v140
	v_fma_f32 v127, v74, v140, -v127
	v_mul_f32_e32 v74, v50, v181
	v_mul_f32_e32 v139, v8, v181
	;; [unrolled: 1-line block ×8, first 2 shown]
	v_fmac_f32_e32 v111, v15, v158
	v_fma_f32 v69, v57, v158, -v43
	v_mul_f32_e32 v57, v58, v203
	v_mul_f32_e32 v157, v17, v205
	v_fmac_f32_e32 v77, v14, v164
	v_fma_f32 v14, v56, v164, -v143
	v_fmac_f32_e32 v95, v19, v162
	v_fma_f32 v15, v61, v162, -v145
	v_fma_f32 v19, v51, v170, -v148
	v_fmac_f32_e32 v72, v7, v184
	v_fmac_f32_e32 v45, v5, v188
	v_fma_f32 v3, v62, v194, -v141
	v_fma_f32 v40, v63, v196, -v150
	v_fmac_f32_e32 v68, v17, v204
	v_add_f32_e32 v5, v137, v134
	v_sub_f32_e32 v17, v6, v125
	v_add_f32_e32 v56, v120, v73
	v_mul_f32_e32 v61, 0xbf68dda4, v11
	v_mul_f32_e32 v62, 0xbf7d64f0, v11
	;; [unrolled: 1-line block ×3, first 2 shown]
	v_add_f32_e32 v4, v4, v122
	v_fmac_f32_e32 v102, v38, v142
	v_mul_f32_e32 v76, v53, v169
	v_mul_f32_e32 v140, v10, v183
	;; [unrolled: 1-line block ×7, first 2 shown]
	v_fmac_f32_e32 v105, v18, v166
	v_fma_f32 v18, v60, v166, -v146
	v_fma_f32 v12, v52, v172, -v144
	v_fmac_f32_e32 v74, v8, v180
	v_fma_f32 v8, v50, v180, -v139
	v_fma_f32 v51, v46, v186, -v44
	;; [unrolled: 1-line block ×5, first 2 shown]
	v_fmac_f32_e32 v37, v21, v196
	v_fma_f32 v47, v65, v200, -v155
	v_fmac_f32_e32 v57, v16, v202
	v_add_f32_e32 v16, v136, v129
	v_sub_f32_e32 v21, v19, v127
	v_mul_f32_e32 v60, 0xbf0a6770, v11
	v_mul_f32_e32 v11, 0xbe903f40, v11
	v_mul_f32_e32 v65, 0xbf4178ce, v17
	v_mul_f32_e32 v66, 0x3e903f40, v17
	v_mul_f32_e32 v67, 0x3f7d64f0, v17
	v_add_f32_e32 v56, v56, v72
	v_fmamk_f32 v159, v5, 0x3ed4b147, v61
	v_fma_f32 v61, 0x3ed4b147, v5, -v61
	v_fmamk_f32 v160, v5, 0xbe11bafb, v62
	v_fma_f32 v62, 0xbe11bafb, v5, -v62
	;; [unrolled: 2-line block ×3, first 2 shown]
	v_add_f32_e32 v4, v4, v111
	v_mul_f32_e32 v142, v13, v169
	v_mul_f32_e32 v151, v7, v185
	;; [unrolled: 1-line block ×3, first 2 shown]
	v_fmac_f32_e32 v76, v13, v168
	v_fma_f32 v10, v54, v182, -v140
	v_fmac_f32_e32 v36, v20, v194
	v_fma_f32 v44, v64, v198, -v152
	v_fmac_f32_e32 v42, v23, v200
	v_add_f32_e32 v20, v126, v121
	v_sub_f32_e32 v23, v12, v123
	v_mul_f32_e32 v64, 0xbf68dda4, v17
	v_mul_f32_e32 v17, 0x3f0a6770, v17
	;; [unrolled: 1-line block ×5, first 2 shown]
	v_fmamk_f32 v158, v5, 0x3f575c64, v60
	v_fma_f32 v60, 0x3f575c64, v5, -v60
	v_fmamk_f32 v162, v5, 0xbf75a155, v11
	v_fma_f32 v5, 0xbf75a155, v5, -v11
	;; [unrolled: 2-line block ×5, first 2 shown]
	v_add_f32_e32 v56, v56, v105
	v_add_f32_e32 v61, v2, v61
	;; [unrolled: 1-line block ×5, first 2 shown]
	v_fma_f32 v13, v53, v168, -v142
	v_fma_f32 v7, v49, v184, -v151
	v_fmac_f32_e32 v41, v24, v190
	v_fmac_f32_e32 v39, v22, v198
	v_add_f32_e32 v22, v122, v112
	v_sub_f32_e32 v24, v69, v26
	v_sub_f32_e32 v52, v10, v108
	v_mul_f32_e32 v70, 0xbf7d64f0, v21
	v_mul_f32_e32 v21, 0xbf4178ce, v21
	;; [unrolled: 1-line block ×5, first 2 shown]
	v_fmamk_f32 v11, v16, 0x3ed4b147, v64
	v_fma_f32 v64, 0x3ed4b147, v16, -v64
	v_fmamk_f32 v166, v16, 0x3f575c64, v17
	v_fma_f32 v16, 0x3f575c64, v16, -v17
	;; [unrolled: 2-line block ×5, first 2 shown]
	v_add_f32_e32 v158, v2, v158
	v_add_f32_e32 v60, v2, v60
	;; [unrolled: 1-line block ×12, first 2 shown]
	v_fma_f32 v9, v55, v178, -v149
	v_fmac_f32_e32 v38, v25, v192
	v_add_f32_e32 v25, v111, v110
	v_add_f32_e32 v53, v73, v109
	v_sub_f32_e32 v54, v7, v107
	v_mul_f32_e32 v141, 0xbf4178ce, v23
	v_mul_f32_e32 v23, 0x3f68dda4, v23
	;; [unrolled: 1-line block ×12, first 2 shown]
	v_fmamk_f32 v17, v20, 0xbe11bafb, v70
	v_fma_f32 v70, 0xbe11bafb, v20, -v70
	v_fmamk_f32 v170, v20, 0xbf27a4f4, v21
	v_fma_f32 v20, 0xbf27a4f4, v20, -v21
	;; [unrolled: 2-line block ×5, first 2 shown]
	v_add_f32_e32 v11, v11, v158
	v_add_f32_e32 v60, v64, v60
	;; [unrolled: 1-line block ×12, first 2 shown]
	v_fma_f32 v49, v58, v202, -v156
	v_fma_f32 v48, v59, v204, -v157
	v_add_f32_e32 v55, v72, v106
	v_sub_f32_e32 v59, v18, v75
	v_mul_f32_e32 v153, 0xbf68dda4, v54
	v_mul_f32_e32 v154, 0xbf4178ce, v54
	v_mul_f32_e32 v155, 0x3e903f40, v54
	v_mul_f32_e32 v156, 0x3f7d64f0, v54
	v_mul_f32_e32 v54, 0x3f0a6770, v54
	v_fmamk_f32 v21, v22, 0xbf27a4f4, v141
	v_fma_f32 v141, 0xbf27a4f4, v22, -v141
	v_fmamk_f32 v174, v22, 0x3ed4b147, v23
	v_fma_f32 v22, 0x3ed4b147, v22, -v23
	;; [unrolled: 2-line block ×9, first 2 shown]
	v_add_f32_e32 v11, v17, v11
	v_add_f32_e32 v17, v70, v60
	;; [unrolled: 1-line block ×13, first 2 shown]
	v_mul_f32_e32 v157, 0xbf7d64f0, v59
	v_fmamk_f32 v179, v53, 0x3ed4b147, v150
	v_fma_f32 v150, 0x3ed4b147, v53, -v150
	v_fmamk_f32 v180, v53, 0xbe11bafb, v151
	v_fma_f32 v151, 0xbe11bafb, v53, -v151
	v_fmamk_f32 v181, v53, 0xbf27a4f4, v152
	v_fma_f32 v152, 0xbf27a4f4, v53, -v152
	v_fmamk_f32 v53, v55, 0x3ed4b147, v153
	v_fma_f32 v153, 0x3ed4b147, v55, -v153
	v_add_f32_e32 v5, v120, v25
	v_add_f32_e32 v25, v120, v149
	;; [unrolled: 1-line block ×13, first 2 shown]
	v_fma_f32 v4, 0x3f575c64, v55, -v54
	v_fmamk_f32 v183, v55, 0xbf27a4f4, v154
	v_fma_f32 v154, 0xbf27a4f4, v55, -v154
	v_fmamk_f32 v184, v55, 0xbf75a155, v155
	v_fma_f32 v155, 0xbf75a155, v55, -v155
	v_add_f32_e32 v149, v120, v179
	v_add_f32_e32 v150, v120, v150
	v_add_f32_e32 v151, v120, v151
	v_add_f32_e32 v5, v53, v5
	v_add_f32_e32 v16, v153, v25
	v_add_f32_e32 v11, v23, v11
	v_add_f32_e32 v23, v176, v60
	v_add_f32_e32 v60, v177, v62
	v_add_f32_e32 v62, v178, v64
	v_fmamk_f32 v64, v58, 0xbe11bafb, v157
	v_mul_f32_e32 v65, 0x3e903f40, v59
	v_add_f32_e32 v4, v4, v52
	v_fma_f32 v52, 0xbe11bafb, v58, -v157
	v_mul_f32_e32 v66, 0x3f68dda4, v59
	v_add_f32_e32 v179, v120, v180
	v_add_f32_e32 v25, v183, v149
	;; [unrolled: 1-line block ×5, first 2 shown]
	v_fmamk_f32 v64, v58, 0xbf75a155, v65
	v_fma_f32 v65, 0xbf75a155, v58, -v65
	v_add_f32_e32 v16, v52, v16
	v_fmamk_f32 v52, v58, 0x3ed4b147, v66
	v_fma_f32 v66, 0x3ed4b147, v58, -v66
	v_fmamk_f32 v185, v55, 0xbe11bafb, v156
	v_fma_f32 v156, 0xbe11bafb, v55, -v156
	v_add_f32_e32 v180, v120, v181
	v_add_f32_e32 v152, v120, v152
	;; [unrolled: 1-line block ×6, first 2 shown]
	v_mul_f32_e32 v64, 0xbf0a6770, v59
	v_add_f32_e32 v65, v66, v149
	v_sub_f32_e32 v66, v13, v104
	v_fmamk_f32 v186, v55, 0x3f575c64, v54
	v_add_f32_e32 v24, v24, v2
	v_add_f32_e32 v2, v185, v180
	v_add_f32_e32 v54, v156, v152
	v_add_f32_e32 v52, v52, v120
	v_mul_f32_e32 v59, 0xbf4178ce, v59
	v_fmamk_f32 v67, v58, 0x3f575c64, v64
	v_fma_f32 v64, 0x3f575c64, v58, -v64
	v_add_f32_e32 v70, v76, v102
	v_mul_f32_e32 v120, 0xbf4178ce, v66
	v_fmamk_f32 v138, v58, 0xbf27a4f4, v59
	v_add_f32_e32 v2, v67, v2
	v_add_f32_e32 v54, v64, v54
	v_fma_f32 v58, 0xbf27a4f4, v58, -v59
	v_fmamk_f32 v59, v70, 0xbf27a4f4, v120
	v_fma_f32 v64, 0xbf27a4f4, v70, -v120
	v_mul_f32_e32 v67, 0x3f7d64f0, v66
	v_add_f32_e32 v55, v186, v181
	v_add_f32_e32 v4, v58, v4
	;; [unrolled: 1-line block ×3, first 2 shown]
	v_mul_f32_e32 v58, 0xbf0a6770, v66
	v_add_f32_e32 v16, v64, v16
	v_fmamk_f32 v59, v70, 0xbe11bafb, v67
	v_fma_f32 v64, 0xbe11bafb, v70, -v67
	v_mul_f32_e32 v67, 0xbe903f40, v66
	v_fmamk_f32 v120, v70, 0x3f575c64, v58
	v_fma_f32 v58, 0x3f575c64, v70, -v58
	v_add_f32_e32 v25, v59, v25
	v_add_f32_e32 v53, v64, v53
	v_fmamk_f32 v59, v70, 0xbf75a155, v67
	v_mul_f32_e32 v64, 0x3f68dda4, v66
	v_add_f32_e32 v58, v58, v65
	v_fma_f32 v65, 0xbf75a155, v70, -v67
	v_add_f32_e32 v66, v119, v31
	v_add_f32_e32 v2, v59, v2
	v_sub_f32_e32 v59, v28, v27
	v_add_f32_e32 v52, v120, v52
	v_add_f32_e32 v54, v65, v54
	;; [unrolled: 1-line block ×4, first 2 shown]
	v_mul_f32_e32 v120, 0xbe903f40, v59
	v_add_f32_e32 v55, v138, v55
	v_fmamk_f32 v67, v70, 0x3ed4b147, v64
	v_fma_f32 v64, 0x3ed4b147, v70, -v64
	v_add_f32_e32 v66, v66, v95
	v_fmamk_f32 v70, v65, 0xbf75a155, v120
	v_fma_f32 v120, 0xbf75a155, v65, -v120
	v_add_f32_e32 v55, v67, v55
	v_mul_f32_e32 v67, 0x3f0a6770, v59
	v_add_f32_e32 v4, v64, v4
	v_add_f32_e32 v70, v70, v5
	;; [unrolled: 1-line block ×3, first 2 shown]
	v_mul_f32_e32 v66, 0xbf4178ce, v59
	v_fmamk_f32 v64, v65, 0x3f575c64, v67
	v_add_f32_e32 v16, v120, v16
	v_add_f32_e32 v17, v141, v17
	;; [unrolled: 1-line block ×3, first 2 shown]
	v_fmamk_f32 v120, v65, 0xbf27a4f4, v66
	v_add_f32_e32 v25, v64, v25
	v_fma_f32 v64, 0x3f575c64, v65, -v67
	v_mul_f32_e32 v67, 0x3f68dda4, v59
	v_add_f32_e32 v5, v5, v79
	v_fma_f32 v66, 0xbf27a4f4, v65, -v66
	v_mul_f32_e32 v59, 0xbf7d64f0, v59
	v_add_f32_e32 v53, v64, v53
	v_fmamk_f32 v64, v65, 0x3ed4b147, v67
	v_add_f32_e32 v5, v5, v83
	v_add_f32_e32 v58, v66, v58
	v_sub_f32_e32 v66, v9, v98
	v_add_f32_e32 v52, v120, v52
	v_add_f32_e32 v64, v64, v2
	v_fma_f32 v2, 0x3ed4b147, v65, -v67
	v_add_f32_e32 v5, v5, v82
	v_fmamk_f32 v67, v65, 0xbe11bafb, v59
	v_fma_f32 v59, 0xbe11bafb, v65, -v59
	v_add_f32_e32 v65, v31, v99
	v_mul_f32_e32 v120, 0xbf0a6770, v66
	v_add_f32_e32 v54, v2, v54
	v_add_f32_e32 v2, v5, v94
	v_sub_f32_e32 v141, v8, v96
	v_add_f32_e32 v55, v67, v55
	v_add_f32_e32 v59, v59, v4
	v_fmamk_f32 v4, v65, 0x3f575c64, v120
	v_mul_f32_e32 v5, 0xbf68dda4, v66
	v_add_f32_e32 v67, v2, v99
	v_fma_f32 v2, 0x3f575c64, v65, -v120
	v_mul_f32_e32 v120, 0xbf7d64f0, v66
	v_mul_f32_e32 v140, 0xbf4178ce, v66
	;; [unrolled: 1-line block ×3, first 2 shown]
	v_add_f32_e32 v143, v74, v94
	v_mul_f32_e32 v144, 0xbf68dda4, v141
	v_add_f32_e32 v17, v145, v17
	v_add_f32_e32 v4, v119, v4
	v_fmamk_f32 v138, v65, 0x3ed4b147, v5
	v_fma_f32 v5, 0x3ed4b147, v65, -v5
	v_fmamk_f32 v139, v65, 0xbe11bafb, v120
	v_fma_f32 v120, 0xbe11bafb, v65, -v120
	;; [unrolled: 2-line block ×4, first 2 shown]
	v_fmamk_f32 v66, v143, 0x3ed4b147, v144
	v_add_f32_e32 v2, v119, v2
	v_mul_f32_e32 v146, 0xbf4178ce, v141
	v_fma_f32 v144, 0x3ed4b147, v143, -v144
	v_add_f32_e32 v138, v119, v138
	v_add_f32_e32 v4, v66, v4
	v_mul_f32_e32 v66, 0x3e903f40, v141
	v_add_f32_e32 v5, v119, v5
	v_add_f32_e32 v139, v119, v139
	;; [unrolled: 1-line block ×7, first 2 shown]
	v_fmamk_f32 v119, v143, 0xbf27a4f4, v146
	v_add_f32_e32 v2, v144, v2
	v_fma_f32 v144, 0xbf27a4f4, v143, -v146
	v_mul_f32_e32 v146, 0x3f7d64f0, v141
	v_fmamk_f32 v147, v143, 0xbf75a155, v66
	v_fma_f32 v66, 0xbf75a155, v143, -v66
	v_add_f32_e32 v119, v119, v138
	v_mul_f32_e32 v141, 0x3f0a6770, v141
	v_fmamk_f32 v138, v143, 0xbe11bafb, v146
	v_add_f32_e32 v5, v144, v5
	v_add_f32_e32 v66, v66, v120
	v_sub_f32_e32 v120, v15, v80
	v_add_f32_e32 v139, v147, v139
	v_add_f32_e32 v138, v138, v142
	v_fma_f32 v142, 0xbe11bafb, v143, -v146
	v_fmamk_f32 v144, v143, 0x3f575c64, v141
	v_add_f32_e32 v146, v95, v82
	v_mul_f32_e32 v147, 0xbf7d64f0, v120
	v_fma_f32 v141, 0x3f575c64, v143, -v141
	v_add_f32_e32 v140, v142, v140
	v_add_f32_e32 v142, v144, v145
	v_mul_f32_e32 v143, 0x3e903f40, v120
	v_mul_f32_e32 v145, 0x3f68dda4, v120
	v_add_f32_e32 v65, v141, v65
	v_fma_f32 v141, 0xbe11bafb, v146, -v147
	v_fmamk_f32 v144, v146, 0xbe11bafb, v147
	v_fmamk_f32 v147, v146, 0xbf75a155, v143
	v_fma_f32 v143, 0xbf75a155, v146, -v143
	v_add_f32_e32 v20, v20, v102
	v_add_f32_e32 v2, v141, v2
	v_fmamk_f32 v141, v146, 0x3ed4b147, v145
	v_add_f32_e32 v4, v144, v4
	v_fma_f32 v144, 0x3ed4b147, v146, -v145
	v_add_f32_e32 v5, v143, v5
	v_mul_f32_e32 v143, 0xbf0a6770, v120
	v_add_f32_e32 v139, v141, v139
	v_mul_f32_e32 v120, 0xbf4178ce, v120
	v_sub_f32_e32 v141, v14, v78
	v_add_f32_e32 v119, v147, v119
	v_add_f32_e32 v66, v144, v66
	v_fmamk_f32 v144, v146, 0x3f575c64, v143
	v_fma_f32 v143, 0x3f575c64, v146, -v143
	v_fmamk_f32 v145, v146, 0xbf27a4f4, v120
	v_add_f32_e32 v147, v77, v83
	v_mul_f32_e32 v148, 0xbf4178ce, v141
	v_fma_f32 v120, 0xbf27a4f4, v146, -v120
	v_add_f32_e32 v138, v144, v138
	v_add_f32_e32 v140, v143, v140
	;; [unrolled: 1-line block ×3, first 2 shown]
	v_fmamk_f32 v143, v147, 0xbf27a4f4, v148
	v_mul_f32_e32 v144, 0x3f7d64f0, v141
	v_add_f32_e32 v65, v120, v65
	v_fma_f32 v120, 0xbf27a4f4, v147, -v148
	v_mul_f32_e32 v145, 0xbf0a6770, v141
	v_add_f32_e32 v4, v143, v4
	v_fmamk_f32 v143, v147, 0xbe11bafb, v144
	v_fma_f32 v144, 0xbe11bafb, v147, -v144
	v_add_f32_e32 v2, v120, v2
	v_fmamk_f32 v120, v147, 0x3f575c64, v145
	v_fma_f32 v145, 0x3f575c64, v147, -v145
	v_add_f32_e32 v119, v143, v119
	v_mul_f32_e32 v143, 0xbe903f40, v141
	v_add_f32_e32 v5, v144, v5
	v_add_f32_e32 v120, v120, v139
	v_sub_f32_e32 v139, v29, v30
	v_add_f32_e32 v66, v145, v66
	v_mul_f32_e32 v141, 0x3f68dda4, v141
	v_fmamk_f32 v144, v147, 0xbf75a155, v143
	v_fma_f32 v143, 0xbf75a155, v147, -v143
	v_add_f32_e32 v145, v81, v79
	v_mul_f32_e32 v146, 0xbe903f40, v139
	v_fmamk_f32 v148, v147, 0x3ed4b147, v141
	v_fma_f32 v141, 0x3ed4b147, v147, -v141
	v_add_f32_e32 v140, v143, v140
	v_add_f32_e32 v138, v144, v138
	v_fmamk_f32 v143, v145, 0xbf75a155, v146
	v_fma_f32 v144, 0xbf75a155, v145, -v146
	v_mul_f32_e32 v146, 0x3f0a6770, v139
	v_add_f32_e32 v65, v141, v65
	v_add_f32_e32 v142, v148, v142
	v_add_f32_e32 v141, v143, v4
	v_mul_f32_e32 v4, 0xbf4178ce, v139
	v_add_f32_e32 v143, v144, v2
	v_fmamk_f32 v2, v145, 0x3f575c64, v146
	v_mul_f32_e32 v144, 0x3f68dda4, v139
	v_fma_f32 v146, 0x3f575c64, v145, -v146
	v_fmamk_f32 v147, v145, 0xbf27a4f4, v4
	v_fma_f32 v4, 0xbf27a4f4, v145, -v4
	v_add_f32_e32 v148, v2, v119
	v_fmamk_f32 v2, v145, 0x3ed4b147, v144
	v_add_f32_e32 v146, v146, v5
	v_mov_b32_e32 v5, 2
	v_add_f32_e32 v66, v4, v66
	v_mov_b32_e32 v4, 0x134
	v_mul_f32_e32 v119, 0xbf7d64f0, v139
	v_add_f32_e32 v138, v2, v138
	v_fma_f32 v2, 0x3ed4b147, v145, -v144
	v_lshlrev_b32_sdwa v135, v5, v135 dst_sel:DWORD dst_unused:UNUSED_PAD src0_sel:DWORD src1_sel:BYTE_0
	v_mul_u32_u24_sdwa v133, v133, v4 dst_sel:DWORD dst_unused:UNUSED_PAD src0_sel:WORD_0 src1_sel:DWORD
	v_add_f32_e32 v147, v147, v120
	v_fmamk_f32 v120, v145, 0xbe11bafb, v119
	v_fma_f32 v119, 0xbe11bafb, v145, -v119
	v_add_f32_e32 v139, v2, v140
	v_add3_u32 v2, 0, v133, v135
	v_add_f32_e32 v21, v175, v21
	v_add_f32_e32 v20, v20, v103
	;; [unrolled: 1-line block ×4, first 2 shown]
	v_mul_u32_u24_sdwa v119, v130, v4 dst_sel:DWORD dst_unused:UNUSED_PAD src0_sel:WORD_0 src1_sel:DWORD
	v_lshlrev_b32_sdwa v120, v5, v132 dst_sel:DWORD dst_unused:UNUSED_PAD src0_sel:DWORD src1_sel:BYTE_0
	ds_write2_b32 v2, v63, v11 offset1:7
	ds_write2_b32 v2, v21, v23 offset0:14 offset1:21
	ds_write2_b32 v2, v60, v62 offset0:28 offset1:35
	;; [unrolled: 1-line block ×3, first 2 shown]
	v_mul_u32_u24_sdwa v11, v128, v4 dst_sel:DWORD dst_unused:UNUSED_PAD src0_sel:WORD_0 src1_sel:DWORD
	v_lshlrev_b32_sdwa v21, v5, v131 dst_sel:DWORD dst_unused:UNUSED_PAD src0_sel:DWORD src1_sel:BYTE_0
	v_add_f32_e32 v20, v20, v106
	v_add3_u32 v119, 0, v119, v120
	v_add3_u32 v120, 0, v11, v21
	v_add_f32_e32 v20, v20, v109
	ds_write2_b32 v2, v56, v22 offset0:56 offset1:63
	ds_write_b32 v2, v17 offset:280
	ds_write2_b32 v119, v20, v70 offset1:7
	ds_write2_b32 v119, v25, v52 offset0:14 offset1:21
	ds_write2_b32 v119, v64, v55 offset0:28 offset1:35
	;; [unrolled: 1-line block ×4, first 2 shown]
	ds_write_b32 v119, v16 offset:280
	ds_write2_b32 v120, v67, v141 offset1:7
	ds_write2_b32 v120, v148, v147 offset0:14 offset1:21
	ds_write2_b32 v120, v138, v140 offset0:28 offset1:35
	ds_write2_b32 v120, v65, v139 offset0:42 offset1:49
	ds_write2_b32 v120, v66, v146 offset0:56 offset1:63
	ds_write_b32 v120, v143 offset:280
	s_and_saveexec_b32 s1, s0
	s_cbranch_execz .LBB0_19
; %bb.18:
	v_sub_f32_e32 v11, v51, v48
	v_add_f32_e32 v16, v71, v68
	v_sub_f32_e32 v20, v50, v49
	v_add_f32_e32 v17, v45, v57
	v_sub_f32_e32 v23, v46, v47
	v_mul_f32_e32 v22, 0xbe903f40, v11
	v_add_f32_e32 v21, v41, v42
	v_mul_f32_e32 v52, 0x3f0a6770, v20
	v_sub_f32_e32 v25, v43, v44
	v_mul_f32_e32 v56, 0xbf4178ce, v23
	v_fma_f32 v53, 0xbf75a155, v16, -v22
	v_add_f32_e32 v24, v38, v39
	v_fma_f32 v58, 0x3f575c64, v17, -v52
	v_sub_f32_e32 v55, v3, v40
	v_mul_f32_e32 v59, 0x3f68dda4, v25
	v_add_f32_e32 v53, v118, v53
	v_mul_f32_e32 v61, 0xbf4178ce, v11
	v_fma_f32 v62, 0xbf27a4f4, v21, -v56
	v_fmac_f32_e32 v22, 0xbf75a155, v16
	v_add_f32_e32 v54, v36, v37
	v_add_f32_e32 v53, v58, v53
	v_mul_f32_e32 v60, 0xbf7d64f0, v55
	v_mul_f32_e32 v58, 0x3f7d64f0, v20
	v_fma_f32 v63, 0x3ed4b147, v24, -v59
	v_fmac_f32_e32 v52, 0x3f575c64, v17
	v_add_f32_e32 v53, v62, v53
	v_add_f32_e32 v22, v118, v22
	v_fma_f32 v64, 0xbf27a4f4, v16, -v61
	v_fma_f32 v62, 0xbe11bafb, v54, -v60
	v_fmac_f32_e32 v56, 0xbf27a4f4, v21
	v_add_f32_e32 v53, v63, v53
	v_add_f32_e32 v22, v52, v22
	v_mul_f32_e32 v52, 0xbf0a6770, v23
	v_fma_f32 v63, 0xbe11bafb, v17, -v58
	v_add_f32_e32 v64, v118, v64
	v_add_f32_e32 v53, v62, v53
	;; [unrolled: 1-line block ×3, first 2 shown]
	v_fmac_f32_e32 v59, 0x3ed4b147, v24
	v_fmac_f32_e32 v61, 0xbf27a4f4, v16
	v_add_f32_e32 v56, v63, v64
	v_fma_f32 v62, 0x3f575c64, v21, -v52
	v_mul_f32_e32 v63, 0xbe903f40, v25
	v_add_f32_e32 v22, v59, v22
	v_add_f32_e32 v59, v118, v61
	v_fmac_f32_e32 v58, 0xbe11bafb, v17
	v_add_f32_e32 v56, v62, v56
	v_fma_f32 v61, 0xbf75a155, v24, -v63
	v_mul_f32_e32 v62, 0x3f68dda4, v55
	v_fmac_f32_e32 v60, 0xbe11bafb, v54
	v_add_f32_e32 v58, v58, v59
	v_fmac_f32_e32 v52, 0x3f575c64, v21
	v_add_f32_e32 v56, v61, v56
	v_fma_f32 v59, 0x3ed4b147, v54, -v62
	v_add_f32_e32 v22, v60, v22
	v_mul_f32_e32 v60, 0xbf7d64f0, v11
	v_add_f32_e32 v52, v52, v58
	v_fmac_f32_e32 v63, 0xbf75a155, v24
	v_add_f32_e32 v56, v59, v56
	v_mul_f32_e32 v58, 0x3e903f40, v20
	v_fma_f32 v59, 0xbe11bafb, v16, -v60
	v_fmac_f32_e32 v60, 0xbe11bafb, v16
	v_add_f32_e32 v52, v63, v52
	v_fmac_f32_e32 v62, 0x3ed4b147, v54
	v_fma_f32 v61, 0xbf75a155, v17, -v58
	v_mul_f32_e32 v63, 0x3f68dda4, v23
	v_add_f32_e32 v60, v118, v60
	v_fmac_f32_e32 v58, 0xbf75a155, v17
	v_add_f32_e32 v52, v62, v52
	v_add_f32_e32 v59, v118, v59
	v_mul_f32_e32 v62, 0xbf0a6770, v25
	v_fma_f32 v64, 0x3ed4b147, v21, -v63
	v_add_f32_e32 v58, v58, v60
	v_fmac_f32_e32 v63, 0x3ed4b147, v21
	v_add_f32_e32 v59, v61, v59
	v_fma_f32 v60, 0x3f575c64, v24, -v62
	v_mul_f32_e32 v61, 0xbf68dda4, v11
	v_mul_f32_e32 v65, 0xbf4178ce, v55
	v_add_f32_e32 v58, v63, v58
	v_fmac_f32_e32 v62, 0x3f575c64, v24
	v_add_f32_e32 v59, v64, v59
	v_fma_f32 v63, 0x3ed4b147, v16, -v61
	v_mul_f32_e32 v64, 0xbf4178ce, v20
	v_fma_f32 v66, 0xbf27a4f4, v54, -v65
	v_add_f32_e32 v58, v62, v58
	v_fmac_f32_e32 v65, 0xbf27a4f4, v54
	v_fmac_f32_e32 v61, 0x3ed4b147, v16
	v_add_f32_e32 v62, v118, v63
	v_fma_f32 v63, 0xbf27a4f4, v17, -v64
	v_fmac_f32_e32 v64, 0xbf27a4f4, v17
	v_add_f32_e32 v58, v65, v58
	v_add_f32_e32 v61, v118, v61
	;; [unrolled: 1-line block ×3, first 2 shown]
	v_mul_f32_e32 v11, 0xbf0a6770, v11
	v_mul_f32_e32 v20, 0xbf68dda4, v20
	;; [unrolled: 1-line block ×3, first 2 shown]
	v_add_f32_e32 v61, v64, v61
	v_add_f32_e32 v64, v65, v45
	v_fma_f32 v65, 0x3f575c64, v16, -v11
	v_fmac_f32_e32 v11, 0x3f575c64, v16
	v_mul_f32_e32 v23, 0xbf7d64f0, v23
	v_add_f32_e32 v59, v60, v59
	v_add_f32_e32 v64, v64, v41
	;; [unrolled: 1-line block ×4, first 2 shown]
	v_mul_f32_e32 v63, 0x3f7d64f0, v25
	v_mul_f32_e32 v25, 0xbf4178ce, v25
	v_add_f32_e32 v16, v64, v38
	v_fma_f32 v64, 0x3ed4b147, v17, -v20
	v_fmac_f32_e32 v20, 0x3ed4b147, v17
	v_add_f32_e32 v17, v118, v65
	v_fma_f32 v65, 0xbe11bafb, v21, -v23
	v_add_f32_e32 v16, v16, v36
	v_fmac_f32_e32 v23, 0xbe11bafb, v21
	v_add_f32_e32 v11, v20, v11
	v_fma_f32 v62, 0xbf75a155, v21, -v67
	v_fmac_f32_e32 v67, 0xbf75a155, v21
	v_add_f32_e32 v16, v16, v37
	v_add_f32_e32 v17, v64, v17
	v_fma_f32 v20, 0xbf27a4f4, v24, -v25
	v_mul_f32_e32 v21, 0xbe903f40, v55
	v_add_f32_e32 v11, v23, v11
	v_add_f32_e32 v16, v16, v39
	v_fmac_f32_e32 v25, 0xbf27a4f4, v24
	v_add_f32_e32 v60, v62, v60
	v_fma_f32 v62, 0xbe11bafb, v24, -v63
	v_mul_f32_e32 v70, 0x3f0a6770, v55
	v_add_f32_e32 v16, v16, v42
	v_add_f32_e32 v61, v67, v61
	v_fmac_f32_e32 v63, 0xbe11bafb, v24
	v_add_f32_e32 v17, v65, v17
	v_fma_f32 v24, 0xbf75a155, v54, -v21
	v_add_f32_e32 v11, v25, v11
	v_fmac_f32_e32 v21, 0xbf75a155, v54
	v_add_f32_e32 v16, v16, v57
	v_mul_u32_u24_sdwa v4, v90, v4 dst_sel:DWORD dst_unused:UNUSED_PAD src0_sel:WORD_0 src1_sel:DWORD
	v_lshlrev_b32_sdwa v5, v5, v91 dst_sel:DWORD dst_unused:UNUSED_PAD src0_sel:DWORD src1_sel:BYTE_0
	v_add_f32_e32 v60, v62, v60
	v_fma_f32 v62, 0x3f575c64, v54, -v70
	v_add_f32_e32 v23, v63, v61
	v_fmac_f32_e32 v70, 0x3f575c64, v54
	v_add_f32_e32 v17, v20, v17
	v_add_f32_e32 v11, v21, v11
	;; [unrolled: 1-line block ×3, first 2 shown]
	v_add3_u32 v4, 0, v4, v5
	v_add_f32_e32 v5, v70, v23
	v_add_f32_e32 v20, v66, v59
	;; [unrolled: 1-line block ×4, first 2 shown]
	ds_write2_b32 v4, v16, v11 offset1:7
	ds_write2_b32 v4, v5, v58 offset0:14 offset1:21
	ds_write2_b32 v4, v52, v22 offset0:28 offset1:35
	;; [unrolled: 1-line block ×4, first 2 shown]
	ds_write_b32 v4, v17 offset:280
.LBB0_19:
	s_or_b32 exec_lo, exec_lo, s1
	v_add_f32_e32 v4, v0, v1
	v_add_f32_e32 v1, v1, v124
	v_sub_f32_e32 v5, v137, v134
	v_add_f32_e32 v11, v6, v125
	v_sub_f32_e32 v16, v136, v129
	v_add_f32_e32 v4, v4, v6
	v_mul_f32_e32 v6, 0x3f575c64, v1
	v_mul_f32_e32 v17, 0x3ed4b147, v1
	v_mul_f32_e32 v20, 0xbe11bafb, v1
	v_mul_f32_e32 v21, 0xbf27a4f4, v1
	v_add_f32_e32 v4, v4, v19
	v_mul_f32_e32 v1, 0xbf75a155, v1
	v_mul_f32_e32 v22, 0x3ed4b147, v11
	v_fmamk_f32 v25, v5, 0x3f0a6770, v6
	v_fmac_f32_e32 v6, 0xbf0a6770, v5
	v_add_f32_e32 v4, v4, v12
	v_mul_f32_e32 v23, 0xbf27a4f4, v11
	v_mul_f32_e32 v24, 0xbf75a155, v11
	v_fmamk_f32 v52, v5, 0x3f68dda4, v17
	v_fmac_f32_e32 v17, 0xbf68dda4, v5
	v_add_f32_e32 v4, v4, v69
	v_fmamk_f32 v53, v5, 0x3f7d64f0, v20
	v_fmac_f32_e32 v20, 0xbf7d64f0, v5
	v_fmamk_f32 v54, v5, 0x3f4178ce, v21
	v_fmac_f32_e32 v21, 0xbf4178ce, v5
	v_add_f32_e32 v4, v4, v26
	v_fmamk_f32 v55, v5, 0x3e903f40, v1
	v_fmac_f32_e32 v1, 0xbe903f40, v5
	v_fmamk_f32 v5, v16, 0x3f68dda4, v22
	v_fmac_f32_e32 v22, 0xbf68dda4, v16
	v_add_f32_e32 v4, v4, v123
	v_add_f32_e32 v25, v0, v25
	;; [unrolled: 1-line block ×3, first 2 shown]
	v_fmamk_f32 v56, v16, 0x3f4178ce, v23
	v_add_f32_e32 v52, v0, v52
	v_add_f32_e32 v4, v4, v127
	;; [unrolled: 1-line block ×12, first 2 shown]
	v_fmac_f32_e32 v23, 0xbf4178ce, v16
	v_add_f32_e32 v4, v22, v6
	v_fmamk_f32 v5, v16, 0xbe903f40, v24
	v_fmac_f32_e32 v24, 0x3e903f40, v16
	v_mul_f32_e32 v22, 0xbe11bafb, v11
	v_mul_f32_e32 v11, 0x3f575c64, v11
	v_add_f32_e32 v19, v19, v127
	v_add_f32_e32 v6, v56, v52
	;; [unrolled: 1-line block ×4, first 2 shown]
	v_fmamk_f32 v23, v16, 0xbf7d64f0, v22
	v_fmac_f32_e32 v22, 0x3f7d64f0, v16
	v_fmamk_f32 v24, v16, 0xbf0a6770, v11
	v_sub_f32_e32 v25, v126, v121
	v_mul_f32_e32 v52, 0xbe11bafb, v19
	v_fmac_f32_e32 v11, 0x3f0a6770, v16
	v_add_f32_e32 v16, v22, v21
	v_add_f32_e32 v21, v24, v55
	v_mul_f32_e32 v24, 0xbf75a155, v19
	v_fmamk_f32 v22, v25, 0x3f7d64f0, v52
	v_add_f32_e32 v0, v11, v0
	v_fmac_f32_e32 v52, 0xbf7d64f0, v25
	v_mul_f32_e32 v11, 0x3ed4b147, v19
	v_add_f32_e32 v5, v5, v53
	v_add_f32_e32 v1, v22, v1
	v_fmamk_f32 v22, v25, 0xbe903f40, v24
	v_fmac_f32_e32 v24, 0x3e903f40, v25
	v_add_f32_e32 v4, v52, v4
	v_fmamk_f32 v52, v25, 0xbf68dda4, v11
	v_fmac_f32_e32 v11, 0x3f68dda4, v25
	v_add_f32_e32 v6, v22, v6
	v_mul_f32_e32 v22, 0x3f575c64, v19
	v_add_f32_e32 v12, v12, v123
	v_add_f32_e32 v23, v23, v54
	;; [unrolled: 1-line block ×5, first 2 shown]
	v_mul_f32_e32 v19, 0xbf27a4f4, v19
	v_fmamk_f32 v20, v25, 0x3f0a6770, v22
	v_fmac_f32_e32 v22, 0xbf0a6770, v25
	v_sub_f32_e32 v24, v122, v112
	v_mul_f32_e32 v52, 0xbf27a4f4, v12
	v_fmamk_f32 v53, v25, 0x3f4178ce, v19
	v_add_f32_e32 v20, v20, v23
	v_add_f32_e32 v16, v22, v16
	v_fmac_f32_e32 v19, 0xbf4178ce, v25
	v_fmamk_f32 v22, v24, 0x3f4178ce, v52
	v_mul_f32_e32 v23, 0xbe11bafb, v12
	v_fmac_f32_e32 v52, 0xbf4178ce, v24
	v_mul_f32_e32 v25, 0xbf75a155, v12
	v_add_f32_e32 v0, v19, v0
	v_add_f32_e32 v1, v22, v1
	v_mul_f32_e32 v19, 0x3f575c64, v12
	v_fmamk_f32 v22, v24, 0xbf7d64f0, v23
	v_add_f32_e32 v4, v52, v4
	v_fmac_f32_e32 v23, 0x3f7d64f0, v24
	v_mul_f32_e32 v12, 0x3ed4b147, v12
	v_fmamk_f32 v52, v24, 0x3f0a6770, v19
	v_fmac_f32_e32 v19, 0xbf0a6770, v24
	v_add_f32_e32 v6, v22, v6
	v_fmamk_f32 v22, v24, 0x3e903f40, v25
	v_fmac_f32_e32 v25, 0xbe903f40, v24
	v_add_f32_e32 v21, v53, v21
	v_add_f32_e32 v11, v19, v11
	;; [unrolled: 1-line block ×6, first 2 shown]
	v_fmamk_f32 v23, v24, 0xbf68dda4, v12
	v_add_f32_e32 v16, v25, v16
	v_sub_f32_e32 v25, v111, v110
	v_mul_f32_e32 v26, 0xbf75a155, v20
	v_add_f32_e32 v22, v22, v7
	v_add_f32_e32 v21, v23, v21
	v_fmac_f32_e32 v12, 0x3f68dda4, v24
	v_mul_f32_e32 v23, 0x3f575c64, v20
	v_fmamk_f32 v24, v25, 0x3e903f40, v26
	v_fmac_f32_e32 v26, 0xbe903f40, v25
	v_add_f32_e32 v22, v22, v18
	v_add_f32_e32 v0, v12, v0
	v_fmamk_f32 v12, v25, 0xbf0a6770, v23
	v_add_f32_e32 v5, v52, v5
	v_add_f32_e32 v110, v26, v4
	v_mul_f32_e32 v4, 0xbf27a4f4, v20
	v_add_f32_e32 v111, v24, v1
	v_add_f32_e32 v1, v22, v13
	;; [unrolled: 1-line block ×3, first 2 shown]
	v_fmac_f32_e32 v23, 0x3f0a6770, v25
	v_fmamk_f32 v12, v25, 0x3f4178ce, v4
	v_mul_f32_e32 v6, 0x3ed4b147, v20
	v_add_f32_e32 v1, v1, v28
	v_fmac_f32_e32 v4, 0xbf4178ce, v25
	v_add_f32_e32 v121, v23, v17
	v_add_f32_e32 v123, v12, v5
	;; [unrolled: 1-line block ×4, first 2 shown]
	v_fmamk_f32 v17, v25, 0xbf68dda4, v6
	v_add_f32_e32 v122, v4, v11
	v_mul_f32_e32 v4, 0xbe11bafb, v20
	v_fmac_f32_e32 v6, 0x3f68dda4, v25
	v_sub_f32_e32 v11, v73, v109
	v_mul_f32_e32 v12, 0x3f575c64, v5
	v_add_f32_e32 v1, v1, v104
	v_fmamk_f32 v10, v25, 0x3f7d64f0, v4
	v_fmac_f32_e32 v4, 0xbf7d64f0, v25
	v_add_f32_e32 v109, v6, v16
	v_fmamk_f32 v6, v11, 0x3f0a6770, v12
	v_fmac_f32_e32 v12, 0xbf0a6770, v11
	v_add_f32_e32 v1, v1, v75
	v_add_f32_e32 v125, v10, v21
	;; [unrolled: 1-line block ×3, first 2 shown]
	v_mul_f32_e32 v0, 0x3ed4b147, v5
	v_mul_f32_e32 v4, 0xbe11bafb, v5
	v_add_f32_e32 v10, v93, v12
	v_mul_f32_e32 v12, 0xbf27a4f4, v5
	v_mul_f32_e32 v5, 0xbf75a155, v5
	v_add_f32_e32 v124, v17, v19
	v_add_f32_e32 v1, v1, v107
	;; [unrolled: 1-line block ×3, first 2 shown]
	v_fmamk_f32 v17, v11, 0x3f4178ce, v12
	v_fmac_f32_e32 v12, 0xbf4178ce, v11
	v_fmamk_f32 v19, v11, 0x3e903f40, v5
	v_add_f32_e32 v108, v1, v108
	v_add_f32_e32 v1, v93, v6
	v_fmamk_f32 v6, v11, 0x3f68dda4, v0
	v_fmac_f32_e32 v0, 0xbf68dda4, v11
	v_fmamk_f32 v16, v11, 0x3f7d64f0, v4
	v_fmac_f32_e32 v4, 0xbf7d64f0, v11
	v_sub_f32_e32 v20, v72, v106
	v_mul_f32_e32 v21, 0x3ed4b147, v7
	v_fmac_f32_e32 v5, 0xbe903f40, v11
	v_add_f32_e32 v11, v93, v12
	v_add_f32_e32 v12, v93, v19
	v_mul_f32_e32 v19, 0xbf27a4f4, v7
	v_add_f32_e32 v0, v93, v0
	v_fmamk_f32 v22, v20, 0x3f68dda4, v21
	v_fmac_f32_e32 v21, 0xbf68dda4, v20
	v_mul_f32_e32 v23, 0xbf75a155, v7
	v_fmamk_f32 v24, v20, 0x3f4178ce, v19
	v_fmac_f32_e32 v19, 0xbf4178ce, v20
	v_add_f32_e32 v6, v93, v6
	v_add_f32_e32 v16, v93, v16
	;; [unrolled: 1-line block ×4, first 2 shown]
	v_fmamk_f32 v21, v20, 0xbe903f40, v23
	v_fmac_f32_e32 v23, 0x3e903f40, v20
	v_add_f32_e32 v0, v19, v0
	v_mul_f32_e32 v19, 0xbe11bafb, v7
	v_mul_f32_e32 v7, 0x3f575c64, v7
	v_add_f32_e32 v18, v18, v75
	v_add_f32_e32 v5, v93, v5
	v_add_f32_e32 v1, v22, v1
	v_add_f32_e32 v6, v24, v6
	v_add_f32_e32 v16, v21, v16
	v_add_f32_e32 v4, v23, v4
	v_fmamk_f32 v21, v20, 0xbf7d64f0, v19
	v_fmac_f32_e32 v19, 0x3f7d64f0, v20
	v_fmamk_f32 v22, v20, 0xbf0a6770, v7
	v_sub_f32_e32 v23, v105, v103
	v_mul_f32_e32 v24, 0xbe11bafb, v18
	v_fmac_f32_e32 v7, 0x3f0a6770, v20
	v_add_f32_e32 v17, v93, v17
	v_add_f32_e32 v11, v19, v11
	v_mul_f32_e32 v20, 0xbf75a155, v18
	v_fmamk_f32 v19, v23, 0x3f7d64f0, v24
	v_add_f32_e32 v5, v7, v5
	v_mul_f32_e32 v7, 0x3ed4b147, v18
	v_add_f32_e32 v17, v21, v17
	v_fmac_f32_e32 v24, 0xbf7d64f0, v23
	v_add_f32_e32 v1, v19, v1
	v_fmamk_f32 v19, v23, 0xbe903f40, v20
	v_fmamk_f32 v21, v23, 0xbf68dda4, v7
	v_fmac_f32_e32 v7, 0x3f68dda4, v23
	v_fmac_f32_e32 v20, 0x3e903f40, v23
	v_add_f32_e32 v12, v22, v12
	v_add_f32_e32 v6, v19, v6
	v_mul_f32_e32 v19, 0x3f575c64, v18
	v_add_f32_e32 v4, v7, v4
	v_add_f32_e32 v7, v13, v104
	;; [unrolled: 1-line block ×4, first 2 shown]
	v_mul_f32_e32 v13, 0xbf27a4f4, v18
	v_fmamk_f32 v18, v23, 0x3f0a6770, v19
	v_fmac_f32_e32 v19, 0xbf0a6770, v23
	v_sub_f32_e32 v20, v76, v102
	v_mul_f32_e32 v21, 0xbf27a4f4, v7
	v_add_f32_e32 v10, v24, v10
	v_fmamk_f32 v22, v23, 0x3f4178ce, v13
	v_add_f32_e32 v17, v18, v17
	v_add_f32_e32 v11, v19, v11
	v_fmac_f32_e32 v13, 0xbf4178ce, v23
	v_fmamk_f32 v18, v20, 0x3f4178ce, v21
	v_fmac_f32_e32 v21, 0xbf4178ce, v20
	v_mul_f32_e32 v19, 0xbe11bafb, v7
	v_add_f32_e32 v12, v22, v12
	v_add_f32_e32 v5, v13, v5
	v_add_f32_e32 v1, v18, v1
	v_mul_f32_e32 v13, 0x3f575c64, v7
	v_add_f32_e32 v10, v21, v10
	v_fmamk_f32 v18, v20, 0xbf7d64f0, v19
	v_mul_f32_e32 v21, 0xbf75a155, v7
	v_fmac_f32_e32 v19, 0x3f7d64f0, v20
	v_fmamk_f32 v22, v20, 0x3f0a6770, v13
	v_fmac_f32_e32 v13, 0xbf0a6770, v20
	v_add_f32_e32 v6, v18, v6
	v_fmamk_f32 v18, v20, 0x3e903f40, v21
	v_mul_f32_e32 v7, 0x3ed4b147, v7
	v_fmac_f32_e32 v21, 0xbe903f40, v20
	v_add_f32_e32 v4, v13, v4
	v_add_f32_e32 v0, v19, v0
	;; [unrolled: 1-line block ×6, first 2 shown]
	v_fmamk_f32 v19, v20, 0xbf68dda4, v7
	v_add_f32_e32 v11, v21, v11
	v_sub_f32_e32 v21, v100, v101
	v_mul_f32_e32 v22, 0xbf75a155, v17
	v_add_f32_e32 v18, v18, v8
	v_add_f32_e32 v12, v19, v12
	v_fmac_f32_e32 v7, 0x3f68dda4, v20
	v_mul_f32_e32 v19, 0x3f575c64, v17
	v_fmamk_f32 v20, v21, 0x3e903f40, v22
	v_add_f32_e32 v18, v18, v15
	v_fmac_f32_e32 v22, 0xbe903f40, v21
	v_add_f32_e32 v5, v7, v5
	v_fmamk_f32 v7, v21, 0xbf0a6770, v19
	v_add_f32_e32 v75, v20, v1
	v_add_f32_e32 v1, v18, v14
	v_fmac_f32_e32 v19, 0x3f0a6770, v21
	v_add_f32_e32 v76, v22, v10
	v_add_f32_e32 v93, v7, v6
	v_mul_f32_e32 v6, 0x3ed4b147, v17
	v_add_f32_e32 v1, v1, v29
	v_mul_f32_e32 v10, 0xbf27a4f4, v17
	v_add_f32_e32 v100, v19, v0
	v_add_f32_e32 v8, v8, v96
	;; [unrolled: 1-line block ×4, first 2 shown]
	v_fmamk_f32 v1, v21, 0xbf68dda4, v6
	v_fmamk_f32 v7, v21, 0x3f4178ce, v10
	v_fmac_f32_e32 v10, 0xbf4178ce, v21
	v_fmac_f32_e32 v6, 0x3f68dda4, v21
	v_add_f32_e32 v0, v0, v78
	v_add_f32_e32 v103, v1, v13
	;; [unrolled: 1-line block ×4, first 2 shown]
	v_mul_f32_e32 v4, 0xbe11bafb, v17
	v_sub_f32_e32 v9, v31, v99
	v_add_f32_e32 v101, v7, v16
	v_mul_f32_e32 v10, 0x3f575c64, v1
	v_add_f32_e32 v99, v6, v11
	v_fmamk_f32 v7, v21, 0x3f7d64f0, v4
	v_fmac_f32_e32 v4, 0xbf7d64f0, v21
	v_add_f32_e32 v0, v0, v80
	v_fmamk_f32 v6, v9, 0x3f0a6770, v10
	v_fmac_f32_e32 v10, 0xbf0a6770, v9
	v_add_f32_e32 v104, v7, v12
	v_add_f32_e32 v105, v4, v5
	v_mul_f32_e32 v4, 0x3ed4b147, v1
	v_mul_f32_e32 v5, 0xbe11bafb, v1
	v_add_f32_e32 v7, v92, v10
	v_mul_f32_e32 v10, 0xbf27a4f4, v1
	v_mul_f32_e32 v1, 0xbf75a155, v1
	v_add_f32_e32 v0, v0, v96
	v_fmamk_f32 v11, v9, 0x3f7d64f0, v5
	v_fmac_f32_e32 v5, 0xbf7d64f0, v9
	v_fmamk_f32 v12, v9, 0x3f4178ce, v10
	v_fmac_f32_e32 v10, 0xbf4178ce, v9
	v_fmamk_f32 v13, v9, 0x3e903f40, v1
	v_add_f32_e32 v98, v0, v98
	v_add_f32_e32 v0, v92, v6
	v_fmamk_f32 v6, v9, 0x3f68dda4, v4
	v_fmac_f32_e32 v4, 0xbf68dda4, v9
	v_sub_f32_e32 v16, v74, v94
	v_mul_f32_e32 v17, 0x3ed4b147, v8
	v_fmac_f32_e32 v1, 0xbe903f40, v9
	v_add_f32_e32 v9, v92, v10
	v_add_f32_e32 v10, v92, v13
	v_mul_f32_e32 v13, 0xbf27a4f4, v8
	v_add_f32_e32 v4, v92, v4
	v_fmamk_f32 v18, v16, 0x3f68dda4, v17
	v_fmac_f32_e32 v17, 0xbf68dda4, v16
	v_mul_f32_e32 v19, 0xbf75a155, v8
	v_fmamk_f32 v20, v16, 0x3f4178ce, v13
	v_fmac_f32_e32 v13, 0xbf4178ce, v16
	v_add_f32_e32 v6, v92, v6
	v_add_f32_e32 v11, v92, v11
	;; [unrolled: 1-line block ×4, first 2 shown]
	v_fmamk_f32 v17, v16, 0xbe903f40, v19
	v_fmac_f32_e32 v19, 0x3e903f40, v16
	v_add_f32_e32 v4, v13, v4
	v_mul_f32_e32 v13, 0xbe11bafb, v8
	v_mul_f32_e32 v8, 0x3f575c64, v8
	v_add_f32_e32 v1, v92, v1
	v_add_f32_e32 v0, v18, v0
	;; [unrolled: 1-line block ×5, first 2 shown]
	v_fmamk_f32 v17, v16, 0xbf7d64f0, v13
	v_fmac_f32_e32 v13, 0x3f7d64f0, v16
	v_fmamk_f32 v18, v16, 0xbf0a6770, v8
	v_sub_f32_e32 v19, v95, v82
	v_mul_f32_e32 v20, 0xbe11bafb, v15
	v_fmac_f32_e32 v8, 0x3f0a6770, v16
	v_add_f32_e32 v12, v92, v12
	v_add_f32_e32 v9, v13, v9
	v_mul_f32_e32 v16, 0xbf75a155, v15
	v_fmamk_f32 v13, v19, 0x3f7d64f0, v20
	v_add_f32_e32 v1, v8, v1
	v_mul_f32_e32 v8, 0x3ed4b147, v15
	v_add_f32_e32 v12, v17, v12
	v_fmac_f32_e32 v20, 0xbf7d64f0, v19
	v_add_f32_e32 v0, v13, v0
	v_fmamk_f32 v13, v19, 0xbe903f40, v16
	v_fmamk_f32 v17, v19, 0xbf68dda4, v8
	v_fmac_f32_e32 v8, 0x3f68dda4, v19
	v_fmac_f32_e32 v16, 0x3e903f40, v19
	v_add_f32_e32 v10, v18, v10
	v_add_f32_e32 v6, v13, v6
	v_mul_f32_e32 v13, 0x3f575c64, v15
	v_add_f32_e32 v5, v8, v5
	v_add_f32_e32 v8, v14, v78
	;; [unrolled: 1-line block ×4, first 2 shown]
	v_mul_f32_e32 v14, 0xbf27a4f4, v15
	v_fmamk_f32 v15, v19, 0x3f0a6770, v13
	v_fmac_f32_e32 v13, 0xbf0a6770, v19
	v_sub_f32_e32 v16, v77, v83
	v_mul_f32_e32 v17, 0xbf27a4f4, v8
	v_add_f32_e32 v7, v20, v7
	v_fmamk_f32 v18, v19, 0x3f4178ce, v14
	v_add_f32_e32 v12, v15, v12
	v_add_f32_e32 v9, v13, v9
	v_fmac_f32_e32 v14, 0xbf4178ce, v19
	v_fmamk_f32 v13, v16, 0x3f4178ce, v17
	v_mul_f32_e32 v15, 0xbe11bafb, v8
	v_fmac_f32_e32 v17, 0xbf4178ce, v16
	v_add_f32_e32 v10, v18, v10
	v_add_f32_e32 v1, v14, v1
	;; [unrolled: 1-line block ×3, first 2 shown]
	v_mul_f32_e32 v13, 0x3f575c64, v8
	v_fmamk_f32 v14, v16, 0xbf7d64f0, v15
	v_add_f32_e32 v7, v17, v7
	v_mul_f32_e32 v17, 0xbf75a155, v8
	v_mul_f32_e32 v8, 0x3ed4b147, v8
	v_fmamk_f32 v18, v16, 0x3f0a6770, v13
	v_add_f32_e32 v6, v14, v6
	v_fmac_f32_e32 v13, 0xbf0a6770, v16
	v_fmamk_f32 v14, v16, 0x3e903f40, v17
	v_fmac_f32_e32 v15, 0x3f7d64f0, v16
	v_add_f32_e32 v11, v18, v11
	v_fmac_f32_e32 v17, 0xbe903f40, v16
	v_add_f32_e32 v5, v13, v5
	v_add_f32_e32 v13, v29, v30
	;; [unrolled: 1-line block ×3, first 2 shown]
	v_fmamk_f32 v14, v16, 0xbf68dda4, v8
	v_add_f32_e32 v4, v15, v4
	v_sub_f32_e32 v15, v81, v79
	v_mul_f32_e32 v18, 0xbf75a155, v13
	v_fmac_f32_e32 v8, 0x3f68dda4, v16
	v_add_f32_e32 v10, v14, v10
	v_mul_f32_e32 v14, 0x3f575c64, v13
	v_add_f32_e32 v9, v17, v9
	v_fmamk_f32 v16, v15, 0x3e903f40, v18
	v_add_f32_e32 v1, v8, v1
	v_mul_f32_e32 v8, 0xbf27a4f4, v13
	v_fmamk_f32 v17, v15, 0xbf0a6770, v14
	v_fmac_f32_e32 v14, 0x3f0a6770, v15
	v_fmac_f32_e32 v18, 0xbe903f40, v15
	v_add_f32_e32 v74, v16, v0
	v_fmamk_f32 v0, v15, 0x3f4178ce, v8
	v_add_f32_e32 v78, v17, v6
	v_mul_f32_e32 v6, 0x3ed4b147, v13
	v_add_f32_e32 v79, v14, v4
	v_mul_f32_e32 v4, 0xbe11bafb, v13
	v_add_f32_e32 v77, v18, v7
	v_add_f32_e32 v80, v0, v11
	v_fmac_f32_e32 v8, 0xbf4178ce, v15
	v_fmamk_f32 v0, v15, 0xbf68dda4, v6
	v_fmac_f32_e32 v6, 0x3f68dda4, v15
	v_fmamk_f32 v7, v15, 0x3f7d64f0, v4
	v_fmac_f32_e32 v4, 0xbf7d64f0, v15
	v_add_nc_u32_e32 v54, 0x1600, v97
	v_lshl_add_u32 v72, v113, 2, 0
	v_add_nc_u32_e32 v52, 0x400, v97
	v_add_nc_u32_e32 v56, 0xc00, v97
	;; [unrolled: 1-line block ×8, first 2 shown]
	v_lshl_add_u32 v70, v117, 2, 0
	v_add_nc_u32_e32 v62, 0x1400, v97
	v_add_f32_e32 v81, v8, v5
	v_add_f32_e32 v82, v0, v12
	;; [unrolled: 1-line block ×5, first 2 shown]
	s_waitcnt lgkmcnt(0)
	s_barrier
	buffer_gl0_inv
	ds_read_b32 v63, v97
	ds_read2_b32 v[22:23], v52 offset0:129 offset1:184
	ds_read2_b32 v[4:5], v53 offset0:75 offset1:130
	;; [unrolled: 1-line block ×8, first 2 shown]
	ds_read_b32 v65, v85
	ds_read_b32 v59, v86
	ds_read2_b32 v[12:13], v56 offset0:167 offset1:222
	v_add_nc_u32_e32 v67, 0x400, v72
	v_add_nc_u32_e32 v69, 0x1c00, v97
	ds_read2_b32 v[18:19], v60 offset0:169 offset1:224
	ds_read_b32 v73, v84
	ds_read_b32 v64, v70
	ds_read2_b32 v[26:27], v61 offset0:93 offset1:148
	ds_read2_b32 v[24:25], v62 offset0:95 offset1:150
	;; [unrolled: 1-line block ×5, first 2 shown]
	s_waitcnt lgkmcnt(0)
	s_barrier
	buffer_gl0_inv
	ds_write2_b32 v2, v118, v111 offset1:7
	ds_write2_b32 v2, v112, v123 offset0:14 offset1:21
	ds_write2_b32 v2, v124, v125 offset0:28 offset1:35
	ds_write2_b32 v2, v126, v109 offset0:42 offset1:49
	ds_write2_b32 v2, v122, v121 offset0:56 offset1:63
	ds_write_b32 v2, v110 offset:280
	ds_write2_b32 v119, v108, v75 offset1:7
	ds_write2_b32 v119, v93, v101 offset0:14 offset1:21
	ds_write2_b32 v119, v103, v104 offset0:28 offset1:35
	ds_write2_b32 v119, v105, v99 offset0:42 offset1:49
	ds_write2_b32 v119, v102, v100 offset0:56 offset1:63
	ds_write_b32 v119, v76 offset:280
	;; [unrolled: 6-line block ×3, first 2 shown]
	s_and_saveexec_b32 s1, s0
	s_cbranch_execz .LBB0_21
; %bb.20:
	v_add_f32_e32 v2, v88, v51
	v_add_f32_e32 v51, v51, v48
	v_sub_f32_e32 v68, v71, v68
	v_add_f32_e32 v71, v50, v49
	v_sub_f32_e32 v45, v45, v57
	v_add_f32_e32 v2, v2, v50
	v_mul_f32_e32 v50, 0x3f575c64, v51
	v_mul_f32_e32 v57, 0x3ed4b147, v51
	;; [unrolled: 1-line block ×4, first 2 shown]
	v_add_f32_e32 v2, v2, v46
	v_mul_f32_e32 v51, 0xbf75a155, v51
	v_mul_f32_e32 v76, 0x3ed4b147, v71
	;; [unrolled: 1-line block ×3, first 2 shown]
	v_fmamk_f32 v79, v68, 0x3f0a6770, v50
	v_add_f32_e32 v2, v2, v43
	v_fmac_f32_e32 v50, 0xbf0a6770, v68
	v_fmamk_f32 v80, v68, 0x3f68dda4, v57
	v_fmac_f32_e32 v57, 0xbf68dda4, v68
	v_mul_f32_e32 v78, 0xbf75a155, v71
	v_add_f32_e32 v2, v2, v3
	v_fmamk_f32 v81, v68, 0x3f7d64f0, v74
	v_fmac_f32_e32 v74, 0xbf7d64f0, v68
	v_fmamk_f32 v82, v68, 0x3f4178ce, v75
	v_fmac_f32_e32 v75, 0xbf4178ce, v68
	v_add_f32_e32 v2, v2, v40
	v_fmamk_f32 v83, v68, 0x3e903f40, v51
	v_fmac_f32_e32 v51, 0xbe903f40, v68
	v_fmamk_f32 v68, v45, 0x3f68dda4, v76
	v_fmac_f32_e32 v76, 0xbf68dda4, v45
	v_add_f32_e32 v2, v2, v44
	v_fmamk_f32 v92, v45, 0x3f4178ce, v77
	v_add_f32_e32 v50, v88, v50
	v_add_f32_e32 v57, v88, v57
	v_fmac_f32_e32 v77, 0xbf4178ce, v45
	v_add_f32_e32 v2, v2, v47
	v_add_f32_e32 v74, v88, v74
	;; [unrolled: 1-line block ×6, first 2 shown]
	v_mul_f32_e32 v77, 0xbe11bafb, v71
	v_mul_f32_e32 v71, 0x3f575c64, v71
	v_add_f32_e32 v49, v88, v75
	v_add_f32_e32 v75, v88, v83
	;; [unrolled: 1-line block ×4, first 2 shown]
	v_fmamk_f32 v50, v45, 0xbe903f40, v78
	v_fmac_f32_e32 v78, 0x3e903f40, v45
	v_fmamk_f32 v47, v45, 0xbf7d64f0, v77
	v_fmac_f32_e32 v77, 0x3f7d64f0, v45
	v_sub_f32_e32 v41, v41, v42
	v_mul_f32_e32 v42, 0xbe11bafb, v46
	v_add_f32_e32 v74, v78, v74
	v_fmamk_f32 v78, v45, 0xbf0a6770, v71
	v_add_f32_e32 v80, v88, v80
	v_add_f32_e32 v51, v88, v51
	;; [unrolled: 1-line block ×3, first 2 shown]
	v_fmac_f32_e32 v71, 0x3f0a6770, v45
	v_add_f32_e32 v45, v77, v49
	v_add_f32_e32 v49, v78, v75
	v_fmamk_f32 v75, v41, 0x3f7d64f0, v42
	v_mul_f32_e32 v77, 0xbf75a155, v46
	v_add_f32_e32 v81, v88, v81
	v_add_f32_e32 v76, v92, v80
	v_add_f32_e32 v51, v71, v51
	v_fmac_f32_e32 v42, 0xbf7d64f0, v41
	v_mul_f32_e32 v71, 0x3ed4b147, v46
	v_add_f32_e32 v68, v75, v68
	v_fmamk_f32 v75, v41, 0xbe903f40, v77
	v_add_f32_e32 v82, v88, v82
	v_add_f32_e32 v50, v50, v81
	;; [unrolled: 1-line block ×3, first 2 shown]
	v_fmamk_f32 v48, v41, 0xbf68dda4, v71
	v_fmac_f32_e32 v71, 0x3f68dda4, v41
	v_add_f32_e32 v75, v75, v76
	v_mul_f32_e32 v76, 0x3f575c64, v46
	v_add_f32_e32 v43, v43, v44
	v_mul_f32_e32 v44, 0xbf27a4f4, v46
	v_add_f32_e32 v47, v47, v82
	v_add_f32_e32 v48, v48, v50
	;; [unrolled: 1-line block ×3, first 2 shown]
	v_fmamk_f32 v46, v41, 0x3f0a6770, v76
	v_fmac_f32_e32 v76, 0xbf0a6770, v41
	v_sub_f32_e32 v38, v38, v39
	v_mul_f32_e32 v39, 0xbf27a4f4, v43
	v_fmamk_f32 v71, v41, 0x3f4178ce, v44
	v_fmac_f32_e32 v77, 0x3e903f40, v41
	v_add_f32_e32 v46, v46, v47
	v_fmac_f32_e32 v44, 0xbf4178ce, v41
	v_add_f32_e32 v41, v76, v45
	v_fmamk_f32 v45, v38, 0x3f4178ce, v39
	v_add_f32_e32 v47, v71, v49
	v_mul_f32_e32 v49, 0xbe11bafb, v43
	v_fmac_f32_e32 v39, 0xbf4178ce, v38
	v_add_f32_e32 v57, v77, v57
	v_add_f32_e32 v44, v44, v51
	;; [unrolled: 1-line block ×3, first 2 shown]
	v_mul_f32_e32 v51, 0x3f575c64, v43
	v_fmamk_f32 v68, v38, 0xbf7d64f0, v49
	v_fmac_f32_e32 v49, 0x3f7d64f0, v38
	v_add_f32_e32 v39, v39, v42
	v_mul_f32_e32 v42, 0xbf75a155, v43
	v_mul_f32_e32 v43, 0x3ed4b147, v43
	v_add_f32_e32 v3, v3, v40
	v_add_f32_e32 v49, v49, v57
	v_fmamk_f32 v71, v38, 0x3f0a6770, v51
	v_fmamk_f32 v57, v38, 0x3e903f40, v42
	v_fmac_f32_e32 v42, 0xbe903f40, v38
	v_fmamk_f32 v40, v38, 0xbf68dda4, v43
	v_fmac_f32_e32 v43, 0x3f68dda4, v38
	v_fmac_f32_e32 v51, 0xbf0a6770, v38
	v_sub_f32_e32 v36, v36, v37
	v_add_f32_e32 v41, v42, v41
	v_mul_f32_e32 v37, 0xbf75a155, v3
	v_add_f32_e32 v38, v40, v47
	v_mul_f32_e32 v40, 0x3f575c64, v3
	;; [unrolled: 2-line block ×3, first 2 shown]
	v_add_f32_e32 v68, v68, v75
	v_add_f32_e32 v48, v71, v48
	;; [unrolled: 1-line block ×3, first 2 shown]
	v_fmamk_f32 v44, v36, 0x3e903f40, v37
	v_fmac_f32_e32 v37, 0xbe903f40, v36
	v_fmamk_f32 v47, v36, 0xbf0a6770, v40
	v_fmac_f32_e32 v40, 0x3f0a6770, v36
	v_fmamk_f32 v51, v36, 0x3f4178ce, v43
	v_add_f32_e32 v44, v44, v45
	v_add_f32_e32 v37, v37, v39
	;; [unrolled: 1-line block ×5, first 2 shown]
	v_mul_f32_e32 v47, 0x3ed4b147, v3
	v_mov_b32_e32 v48, 0x134
	v_mov_b32_e32 v49, 2
	v_mul_f32_e32 v3, 0xbe11bafb, v3
	v_add_f32_e32 v46, v57, v46
	v_fmamk_f32 v51, v36, 0xbf68dda4, v47
	v_mul_u32_u24_sdwa v48, v90, v48 dst_sel:DWORD dst_unused:UNUSED_PAD src0_sel:WORD_0 src1_sel:DWORD
	v_lshlrev_b32_sdwa v49, v49, v91 dst_sel:DWORD dst_unused:UNUSED_PAD src0_sel:DWORD src1_sel:BYTE_0
	v_fmamk_f32 v57, v36, 0x3f7d64f0, v3
	v_fmac_f32_e32 v47, 0x3f68dda4, v36
	v_fmac_f32_e32 v3, 0xbf7d64f0, v36
	;; [unrolled: 1-line block ×3, first 2 shown]
	v_add_f32_e32 v36, v51, v46
	v_add3_u32 v46, 0, v48, v49
	v_add_f32_e32 v38, v57, v38
	v_add_f32_e32 v41, v47, v41
	v_add_f32_e32 v3, v3, v42
	v_add_f32_e32 v42, v43, v50
	ds_write2_b32 v46, v2, v44 offset1:7
	ds_write2_b32 v46, v39, v45 offset0:14 offset1:21
	ds_write2_b32 v46, v36, v38 offset0:28 offset1:35
	;; [unrolled: 1-line block ×4, first 2 shown]
	ds_write_b32 v46, v37 offset:280
.LBB0_21:
	s_or_b32 exec_lo, exec_lo, s1
	v_lshlrev_b32_e32 v36, 2, v113
	v_mov_b32_e32 v37, 0
	v_mul_lo_u16 v38, 0xd5, v87
	v_mov_b32_e32 v44, 5
	s_waitcnt lgkmcnt(0)
	s_barrier
	v_lshlrev_b64 v[2:3], 3, v[36:37]
	v_lshrrev_b16 v40, 14, v38
	buffer_gl0_inv
	v_add_nc_u32_e32 v74, 0x113, v113
	v_add_nc_u32_e32 v76, 0x14a, v113
	v_add_co_u32 v38, s0, s12, v2
	v_add_co_ci_u32_e64 v39, s0, s13, v3, s0
	v_subrev_nc_u32_e32 v2, 22, v113
	v_cmp_gt_u32_e64 s0, 22, v113
	v_mul_lo_u16 v3, 0x4d, v40
	s_clause 0x1
	global_load_dwordx4 v[48:51], v[38:39], off offset:560
	global_load_dwordx4 v[90:93], v[38:39], off offset:576
	v_cndmask_b32_e64 v2, v2, v114, s0
	v_sub_nc_u16 v45, v115, v3
	v_lshlrev_b32_e32 v36, 2, v2
	v_lshlrev_b32_sdwa v41, v44, v45 dst_sel:DWORD dst_unused:UNUSED_PAD src0_sel:DWORD src1_sel:BYTE_0
	v_lshlrev_b64 v[2:3], 3, v[36:37]
	global_load_dwordx4 v[98:101], v41, s[12:13] offset:560
	v_add_co_u32 v2, s0, s12, v2
	v_add_co_ci_u32_e64 v3, s0, s13, v3, s0
	s_clause 0x1
	global_load_dwordx4 v[102:105], v41, s[12:13] offset:576
	global_load_dwordx4 v[106:109], v[2:3], off offset:560
	v_mul_lo_u16 v41, 0xd5, v89
	global_load_dwordx4 v[118:121], v[2:3], off offset:576
	v_mov_b32_e32 v3, 0x1a99
	v_cmp_lt_u32_e64 s0, 21, v113
	v_lshrrev_b16 v2, 14, v41
	v_mul_u32_u24_sdwa v41, v117, v3 dst_sel:DWORD dst_unused:UNUSED_PAD src0_sel:WORD_0 src1_sel:DWORD
	v_mul_lo_u16 v2, 0x4d, v2
	v_lshrrev_b32_e32 v41, 19, v41
	v_sub_nc_u16 v2, v116, v2
	v_mul_lo_u16 v46, 0x4d, v41
	v_and_b32_e32 v42, 0xff, v2
	v_mul_u32_u24_sdwa v2, v74, v3 dst_sel:DWORD dst_unused:UNUSED_PAD src0_sel:WORD_0 src1_sel:DWORD
	v_sub_nc_u16 v46, v117, v46
	v_lshlrev_b32_e32 v47, 5, v42
	v_lshrrev_b32_e32 v43, 19, v2
	v_lshlrev_b32_sdwa v57, v44, v46 dst_sel:DWORD dst_unused:UNUSED_PAD src0_sel:DWORD src1_sel:WORD_0
	s_clause 0x1
	global_load_dwordx4 v[122:125], v47, s[12:13] offset:560
	global_load_dwordx4 v[126:129], v47, s[12:13] offset:576
	v_mul_lo_u16 v2, 0x4d, v43
	global_load_dwordx4 v[130:133], v57, s[12:13] offset:560
	v_sub_nc_u16 v68, v74, v2
	v_lshlrev_b32_sdwa v2, v44, v68 dst_sel:DWORD dst_unused:UNUSED_PAD src0_sel:DWORD src1_sel:WORD_0
	s_clause 0x2
	global_load_dwordx4 v[134:137], v57, s[12:13] offset:576
	global_load_dwordx4 v[138:141], v2, s[12:13] offset:560
	;; [unrolled: 1-line block ×3, first 2 shown]
	v_mul_u32_u24_sdwa v2, v76, v3 dst_sel:DWORD dst_unused:UNUSED_PAD src0_sel:WORD_0 src1_sel:DWORD
	v_mov_b32_e32 v57, 2
	v_lshrrev_b32_e32 v2, 19, v2
	v_lshlrev_b32_sdwa v47, v57, v45 dst_sel:DWORD dst_unused:UNUSED_PAD src0_sel:DWORD src1_sel:BYTE_0
	v_lshlrev_b32_sdwa v45, v57, v68 dst_sel:DWORD dst_unused:UNUSED_PAD src0_sel:DWORD src1_sel:WORD_0
	v_lshlrev_b32_sdwa v46, v57, v46 dst_sel:DWORD dst_unused:UNUSED_PAD src0_sel:DWORD src1_sel:WORD_0
	v_mul_lo_u16 v2, 0x4d, v2
	v_sub_nc_u16 v2, v76, v2
	v_and_b32_e32 v44, 0xffff, v2
	v_lshlrev_b32_e32 v2, 5, v44
	s_clause 0x1
	global_load_dwordx4 v[146:149], v2, s[12:13] offset:560
	global_load_dwordx4 v[150:153], v2, s[12:13] offset:576
	ds_read2_b32 v[87:88], v52 offset0:129 offset1:184
	ds_read2_b32 v[94:95], v53 offset0:75 offset1:130
	;; [unrolled: 1-line block ×6, first 2 shown]
	ds_read_b32 v81, v84
	ds_read_b32 v78, v85
	ds_read2_b32 v[160:161], v55 offset0:111 offset1:166
	ds_read2_b32 v[162:163], v58 offset0:113 offset1:168
	ds_read_b32 v79, v86
	ds_read2_b32 v[164:165], v56 offset0:167 offset1:222
	ds_read2_b32 v[166:167], v60 offset0:169 offset1:224
	ds_read_b32 v82, v97
	ds_read_b32 v80, v70
	ds_read2_b32 v[168:169], v61 offset0:93 offset1:148
	ds_read2_b32 v[170:171], v62 offset0:95 offset1:150
	;; [unrolled: 1-line block ×5, first 2 shown]
	s_waitcnt vmcnt(0) lgkmcnt(0)
	s_barrier
	buffer_gl0_inv
	v_mul_f32_e32 v68, v95, v51
	v_mul_f32_e32 v71, v110, v91
	v_mul_f32_e32 v57, v87, v49
	v_mul_f32_e32 v49, v22, v49
	v_mul_f32_e32 v51, v5, v51
	v_mul_f32_e32 v75, v16, v91
	v_mul_f32_e32 v77, v155, v93
	v_mul_f32_e32 v83, v7, v93
	v_fmac_f32_e32 v68, v5, v50
	v_fmac_f32_e32 v71, v16, v90
	;; [unrolled: 1-line block ×3, first 2 shown]
	v_fma_f32 v22, v87, v48, -v49
	v_fma_f32 v5, v95, v50, -v51
	;; [unrolled: 1-line block ×3, first 2 shown]
	v_fmac_f32_e32 v77, v7, v92
	v_fma_f32 v87, v155, v92, -v83
	v_mul_f32_e32 v50, v160, v99
	v_mul_f32_e32 v7, v20, v99
	;; [unrolled: 1-line block ×4, first 2 shown]
	v_sub_f32_e32 v112, v57, v68
	v_sub_f32_e32 v155, v68, v57
	v_add_f32_e32 v177, v82, v22
	v_add_f32_e32 v178, v5, v49
	v_mul_f32_e32 v89, v162, v103
	v_mul_f32_e32 v48, v14, v103
	;; [unrolled: 1-line block ×10, first 2 shown]
	v_add_f32_e32 v107, v68, v71
	v_mul_f32_e32 v99, v111, v119
	v_mul_f32_e32 v101, v158, v121
	v_add_f32_e32 v105, v63, v57
	v_sub_f32_e32 v109, v22, v87
	v_sub_f32_e32 v119, v77, v71
	v_add_f32_e32 v121, v57, v77
	v_sub_f32_e32 v179, v57, v77
	v_sub_f32_e32 v57, v22, v5
	v_add_f32_e32 v182, v22, v87
	v_sub_f32_e32 v183, v5, v22
	v_fmac_f32_e32 v50, v20, v98
	v_fma_f32 v98, v160, v98, -v7
	v_fmac_f32_e32 v83, v31, v100
	v_fma_f32 v100, v157, v100, -v16
	;; [unrolled: 2-line block ×5, first 2 shown]
	v_fmac_f32_e32 v96, v30, v108
	v_mul_f32_e32 v157, v161, v123
	v_mul_f32_e32 v14, v21, v123
	;; [unrolled: 1-line block ×8, first 2 shown]
	v_fma_f32 v30, v156, v108, -v91
	v_fma_f32 v108, v111, v118, -v93
	;; [unrolled: 1-line block ×3, first 2 shown]
	v_fma_f32 v7, -0.5, v107, v63
	v_sub_f32_e32 v110, v5, v49
	v_sub_f32_e32 v176, v71, v77
	v_mul_f32_e32 v48, v170, v135
	v_mul_f32_e32 v22, v169, v139
	;; [unrolled: 1-line block ×4, first 2 shown]
	v_sub_f32_e32 v180, v68, v71
	v_sub_f32_e32 v181, v87, v49
	v_mul_f32_e32 v125, v12, v125
	v_mul_f32_e32 v160, v166, v129
	;; [unrolled: 1-line block ×10, first 2 shown]
	v_fmac_f32_e32 v99, v17, v118
	v_fmac_f32_e32 v101, v28, v120
	v_add_f32_e32 v23, v105, v68
	v_add_f32_e32 v28, v112, v119
	v_fmac_f32_e32 v63, -0.5, v121
	v_add_f32_e32 v68, v177, v5
	v_fma_f32 v5, -0.5, v178, v82
	v_fmac_f32_e32 v157, v21, v122
	v_fma_f32 v112, v161, v122, -v14
	v_fmac_f32_e32 v123, v12, v124
	v_fma_f32 v119, v163, v126, -v127
	v_fmac_f32_e32 v51, v26, v130
	v_fmac_f32_e32 v31, v13, v132
	v_fma_f32 v90, v165, v132, -v133
	v_fmac_f32_e32 v48, v24, v134
	;; [unrolled: 3-line block ×3, first 2 shown]
	v_mul_f32_e32 v12, v94, v147
	v_mul_f32_e32 v25, v4, v147
	;; [unrolled: 1-line block ×4, first 2 shown]
	v_add_f32_e32 v122, v65, v50
	v_add_f32_e32 v132, v78, v98
	;; [unrolled: 1-line block ×4, first 2 shown]
	v_fmamk_f32 v24, v109, 0xbf737871, v7
	v_fmac_f32_e32 v7, 0x3f737871, v109
	v_add_f32_e32 v156, v30, v108
	v_add_f32_e32 v163, v106, v103
	v_mul_f32_e32 v137, v19, v137
	v_mul_f32_e32 v145, v8, v145
	v_add_f32_e32 v105, v155, v176
	v_add_f32_e32 v107, v57, v181
	v_fmac_f32_e32 v159, v15, v126
	v_fmac_f32_e32 v160, v18, v128
	v_fma_f32 v120, v166, v128, -v129
	v_fma_f32 v88, v168, v130, -v131
	;; [unrolled: 1-line block ×3, first 2 shown]
	v_fmac_f32_e32 v75, v19, v136
	v_fmac_f32_e32 v16, v10, v140
	v_fma_f32 v18, v172, v140, -v141
	v_fma_f32 v19, v171, v142, -v143
	v_fmac_f32_e32 v29, v8, v144
	v_mul_f32_e32 v8, v173, v149
	v_mul_f32_e32 v10, v154, v151
	;; [unrolled: 1-line block ×4, first 2 shown]
	v_sub_f32_e32 v127, v50, v83
	v_add_f32_e32 v129, v50, v95
	v_sub_f32_e32 v130, v83, v50
	v_sub_f32_e32 v131, v89, v95
	;; [unrolled: 1-line block ×4, first 2 shown]
	v_add_f32_e32 v71, v23, v71
	v_fmamk_f32 v23, v110, 0x3f737871, v63
	v_fmac_f32_e32 v63, 0xbf737871, v110
	v_add_f32_e32 v140, v68, v49
	v_fmamk_f32 v14, v179, 0x3f737871, v5
	v_fmac_f32_e32 v5, 0xbf737871, v179
	v_add_f32_e32 v141, v73, v92
	v_add_f32_e32 v142, v96, v99
	;; [unrolled: 1-line block ×4, first 2 shown]
	v_sub_f32_e32 v161, v96, v99
	v_fmac_f32_e32 v12, v4, v146
	v_fma_f32 v50, v94, v146, -v25
	v_fma_f32 v57, v173, v148, -v26
	v_fmac_f32_e32 v13, v9, v152
	v_add_f32_e32 v25, v122, v83
	v_add_f32_e32 v26, v132, v100
	v_fma_f32 v4, -0.5, v133, v78
	v_fmac_f32_e32 v78, -0.5, v138
	v_fmac_f32_e32 v24, 0xbf167918, v110
	v_fmac_f32_e32 v7, 0x3f167918, v110
	v_fma_f32 v9, -0.5, v156, v81
	v_fmac_f32_e32 v81, -0.5, v163
	v_sub_f32_e32 v184, v49, v87
	v_fma_f32 v118, v164, v124, -v125
	v_fma_f32 v93, v167, v136, -v137
	;; [unrolled: 1-line block ×3, first 2 shown]
	v_add_f32_e32 v124, v83, v89
	v_sub_f32_e32 v125, v98, v104
	v_sub_f32_e32 v126, v100, v102
	;; [unrolled: 1-line block ×15, first 2 shown]
	v_fmac_f32_e32 v10, v6, v150
	v_fma_f32 v68, v154, v150, -v27
	v_fma_f32 v49, v175, v152, -v121
	v_add_f32_e32 v121, v130, v131
	v_add_f32_e32 v27, v59, v157
	;; [unrolled: 1-line block ×5, first 2 shown]
	v_fmac_f32_e32 v23, 0xbf167918, v109
	v_fmac_f32_e32 v63, 0x3f167918, v109
	v_add_f32_e32 v6, v140, v87
	v_fmac_f32_e32 v14, 0x3f167918, v180
	v_fmac_f32_e32 v5, 0xbf167918, v180
	v_add_f32_e32 v87, v141, v96
	v_fma_f32 v77, -0.5, v142, v73
	v_fmac_f32_e32 v73, -0.5, v149
	v_add_f32_e32 v30, v155, v30
	v_add_f32_e32 v131, v25, v89
	;; [unrolled: 1-line block ×3, first 2 shown]
	v_fmamk_f32 v25, v134, 0x3f737871, v4
	v_fmac_f32_e32 v4, 0xbf737871, v134
	v_fmamk_f32 v26, v135, 0xbf737871, v78
	v_fmac_f32_e32 v78, 0x3f737871, v135
	v_fmac_f32_e32 v24, 0x3e9e377a, v28
	;; [unrolled: 1-line block ×3, first 2 shown]
	v_fmamk_f32 v28, v161, 0xbf737871, v81
	v_fmac_f32_e32 v81, 0x3f737871, v161
	v_fmac_f32_e32 v82, -0.5, v182
	v_sub_f32_e32 v147, v101, v99
	v_sub_f32_e32 v153, v99, v101
	;; [unrolled: 1-line block ×3, first 2 shown]
	v_fmac_f32_e32 v8, v11, v148
	v_fma_f32 v11, -0.5, v124, v65
	v_add_f32_e32 v94, v127, v128
	v_add_f32_e32 v100, v136, v137
	;; [unrolled: 1-line block ×3, first 2 shown]
	v_sub_f32_e32 v124, v112, v120
	v_sub_f32_e32 v127, v118, v119
	v_add_f32_e32 v106, v106, v164
	v_add_f32_e32 v132, v27, v123
	v_fma_f32 v71, -0.5, v122, v59
	v_fmac_f32_e32 v23, 0x3e9e377a, v105
	v_fmac_f32_e32 v63, 0x3e9e377a, v105
	;; [unrolled: 1-line block ×4, first 2 shown]
	v_add_f32_e32 v87, v87, v99
	v_fmamk_f32 v99, v143, 0xbf737871, v77
	v_fmac_f32_e32 v77, 0x3f737871, v143
	v_fmamk_f32 v105, v144, 0x3f737871, v73
	v_fmac_f32_e32 v73, 0xbf737871, v144
	v_add_f32_e32 v107, v30, v108
	v_fmamk_f32 v27, v158, 0x3f737871, v9
	v_fmac_f32_e32 v9, 0xbf737871, v158
	v_fmac_f32_e32 v25, 0x3f167918, v135
	;; [unrolled: 1-line block ×7, first 2 shown]
	v_fmac_f32_e32 v59, -0.5, v130
	v_fmamk_f32 v15, v180, 0xbf737871, v82
	v_fmac_f32_e32 v82, 0x3f737871, v180
	v_fmac_f32_e32 v65, -0.5, v129
	v_sub_f32_e32 v128, v157, v123
	v_sub_f32_e32 v129, v160, v159
	v_add_f32_e32 v96, v145, v147
	v_add_f32_e32 v109, v151, v153
	;; [unrolled: 1-line block ×4, first 2 shown]
	v_fmamk_f32 v102, v124, 0xbf737871, v71
	v_add_f32_e32 v101, v87, v101
	v_fmac_f32_e32 v99, 0xbf167918, v144
	v_fmac_f32_e32 v77, 0x3f167918, v144
	;; [unrolled: 1-line block ×4, first 2 shown]
	v_add_f32_e32 v87, v107, v103
	v_fmac_f32_e32 v27, 0x3f167918, v161
	v_fmac_f32_e32 v9, 0xbf167918, v161
	;; [unrolled: 1-line block ×9, first 2 shown]
	v_fmamk_f32 v98, v127, 0x3f737871, v59
	v_sub_f32_e32 v100, v123, v157
	v_sub_f32_e32 v103, v159, v160
	v_add_f32_e32 v104, v79, v112
	v_add_f32_e32 v106, v118, v119
	v_fmac_f32_e32 v59, 0xbf737871, v127
	v_add_f32_e32 v111, v183, v184
	v_fmac_f32_e32 v15, 0x3f167918, v179
	v_fmac_f32_e32 v82, 0xbf167918, v179
	;; [unrolled: 1-line block ×9, first 2 shown]
	v_add_f32_e32 v96, v128, v129
	v_fmac_f32_e32 v71, 0x3f167918, v127
	v_fmac_f32_e32 v98, 0xbf167918, v124
	v_add_f32_e32 v100, v100, v103
	v_add_f32_e32 v103, v104, v118
	v_fma_f32 v104, -0.5, v106, v79
	v_sub_f32_e32 v106, v157, v160
	v_fmac_f32_e32 v59, 0x3f167918, v124
	v_add_f32_e32 v107, v112, v120
	v_sub_f32_e32 v109, v112, v118
	v_sub_f32_e32 v110, v120, v119
	v_fmac_f32_e32 v15, 0x3e9e377a, v111
	v_fmac_f32_e32 v82, 0x3e9e377a, v111
	;; [unrolled: 1-line block ×5, first 2 shown]
	v_add_f32_e32 v96, v103, v119
	v_fmamk_f32 v103, v106, 0x3f737871, v104
	v_sub_f32_e32 v108, v123, v159
	v_fmac_f32_e32 v59, 0x3e9e377a, v100
	v_fmac_f32_e32 v79, -0.5, v107
	v_add_f32_e32 v100, v109, v110
	v_fmac_f32_e32 v104, 0xbf737871, v106
	v_sub_f32_e32 v109, v118, v112
	v_sub_f32_e32 v110, v119, v120
	v_add_f32_e32 v111, v31, v48
	v_fmamk_f32 v89, v126, 0x3f737871, v65
	v_fmac_f32_e32 v65, 0xbf737871, v126
	v_add_f32_e32 v96, v96, v120
	v_fmac_f32_e32 v103, 0x3f167918, v108
	v_fmamk_f32 v107, v108, 0xbf737871, v79
	v_fmac_f32_e32 v104, 0xbf167918, v108
	v_add_f32_e32 v109, v109, v110
	v_add_f32_e32 v110, v64, v51
	v_fma_f32 v111, -0.5, v111, v64
	v_sub_f32_e32 v112, v88, v93
	v_fmac_f32_e32 v79, 0x3f737871, v108
	v_add_f32_e32 v120, v51, v75
	v_fmac_f32_e32 v89, 0xbf167918, v125
	v_fmac_f32_e32 v65, 0x3f167918, v125
	;; [unrolled: 1-line block ×5, first 2 shown]
	v_add_f32_e32 v100, v110, v31
	v_fmamk_f32 v108, v112, 0xbf737871, v111
	v_sub_f32_e32 v110, v90, v91
	v_sub_f32_e32 v118, v51, v31
	v_sub_f32_e32 v119, v75, v48
	v_fmac_f32_e32 v79, 0xbf167918, v106
	v_fmac_f32_e32 v64, -0.5, v120
	v_fmac_f32_e32 v111, 0x3f737871, v112
	v_add_f32_e32 v120, v80, v88
	v_fmac_f32_e32 v89, 0x3e9e377a, v121
	v_fmac_f32_e32 v65, 0x3e9e377a, v121
	;; [unrolled: 1-line block ×3, first 2 shown]
	v_add_f32_e32 v100, v100, v48
	v_fmac_f32_e32 v108, 0xbf167918, v110
	v_add_f32_e32 v106, v118, v119
	v_fmac_f32_e32 v79, 0x3e9e377a, v109
	v_fmamk_f32 v109, v110, 0x3f737871, v64
	v_sub_f32_e32 v118, v31, v51
	v_sub_f32_e32 v119, v48, v75
	v_fmac_f32_e32 v111, 0x3f167918, v110
	v_add_f32_e32 v121, v90, v91
	v_fmac_f32_e32 v64, 0xbf737871, v110
	v_add_f32_e32 v110, v120, v90
	v_add_f32_e32 v100, v100, v75
	;; [unrolled: 1-line block ×3, first 2 shown]
	v_fma_f32 v119, -0.5, v121, v80
	v_sub_f32_e32 v51, v51, v75
	v_add_f32_e32 v75, v110, v91
	v_add_f32_e32 v110, v88, v93
	v_fmac_f32_e32 v108, 0x3e9e377a, v106
	v_fmac_f32_e32 v109, 0xbf167918, v112
	;; [unrolled: 1-line block ×4, first 2 shown]
	v_fmamk_f32 v106, v51, 0x3f737871, v119
	v_sub_f32_e32 v31, v31, v48
	v_sub_f32_e32 v48, v88, v90
	v_sub_f32_e32 v112, v93, v91
	v_fmac_f32_e32 v80, -0.5, v110
	v_add_f32_e32 v110, v75, v93
	v_fmac_f32_e32 v119, 0xbf737871, v51
	v_sub_f32_e32 v75, v90, v88
	v_sub_f32_e32 v88, v91, v93
	v_add_f32_e32 v90, v16, v20
	v_fmac_f32_e32 v106, 0x3f167918, v31
	v_add_f32_e32 v48, v48, v112
	v_fmac_f32_e32 v119, 0xbf167918, v31
	v_add_f32_e32 v75, v75, v88
	v_add_f32_e32 v88, v0, v22
	v_fma_f32 v90, -0.5, v90, v0
	v_sub_f32_e32 v91, v17, v21
	v_fmac_f32_e32 v109, 0x3e9e377a, v118
	v_fmac_f32_e32 v64, 0x3e9e377a, v118
	v_fmamk_f32 v112, v31, 0xbf737871, v80
	v_fmac_f32_e32 v106, 0x3e9e377a, v48
	v_fmac_f32_e32 v119, 0x3e9e377a, v48
	;; [unrolled: 1-line block ×3, first 2 shown]
	v_add_f32_e32 v31, v88, v16
	v_fmamk_f32 v48, v91, 0xbf737871, v90
	v_sub_f32_e32 v88, v18, v19
	v_sub_f32_e32 v93, v22, v16
	;; [unrolled: 1-line block ×3, first 2 shown]
	v_add_f32_e32 v120, v22, v29
	v_fmac_f32_e32 v90, 0x3f737871, v91
	v_fmac_f32_e32 v112, 0x3f167918, v51
	;; [unrolled: 1-line block ×4, first 2 shown]
	v_add_f32_e32 v51, v93, v118
	v_fma_f32 v0, -0.5, v120, v0
	v_sub_f32_e32 v93, v16, v22
	v_sub_f32_e32 v118, v20, v29
	v_fmac_f32_e32 v90, 0x3f167918, v88
	v_add_f32_e32 v120, v2, v17
	v_add_f32_e32 v121, v18, v19
	v_fmac_f32_e32 v112, 0x3e9e377a, v75
	v_add_f32_e32 v31, v31, v20
	v_fmac_f32_e32 v80, 0x3e9e377a, v75
	v_fmac_f32_e32 v48, 0x3e9e377a, v51
	v_fmamk_f32 v75, v88, 0x3f737871, v0
	v_add_f32_e32 v93, v93, v118
	v_fmac_f32_e32 v0, 0xbf737871, v88
	v_add_f32_e32 v88, v120, v18
	v_fma_f32 v118, -0.5, v121, v2
	v_sub_f32_e32 v22, v22, v29
	v_fmac_f32_e32 v90, 0x3e9e377a, v51
	v_add_f32_e32 v51, v17, v21
	v_add_f32_e32 v31, v31, v29
	v_fmac_f32_e32 v75, 0xbf167918, v91
	v_fmac_f32_e32 v0, 0x3f167918, v91
	v_add_f32_e32 v29, v88, v19
	v_fmamk_f32 v88, v22, 0x3f737871, v118
	v_sub_f32_e32 v16, v16, v20
	v_sub_f32_e32 v20, v17, v18
	;; [unrolled: 1-line block ×3, first 2 shown]
	v_fma_f32 v2, -0.5, v51, v2
	v_fmac_f32_e32 v118, 0xbf737871, v22
	v_sub_f32_e32 v17, v18, v17
	v_sub_f32_e32 v18, v19, v21
	v_add_f32_e32 v19, v8, v10
	v_fmac_f32_e32 v88, 0x3f167918, v16
	v_add_f32_e32 v20, v20, v91
	v_fmamk_f32 v91, v16, 0xbf737871, v2
	v_fmac_f32_e32 v118, 0xbf167918, v16
	v_add_f32_e32 v17, v17, v18
	v_fmac_f32_e32 v2, 0x3f737871, v16
	v_add_f32_e32 v16, v1, v12
	v_fma_f32 v18, -0.5, v19, v1
	v_sub_f32_e32 v19, v50, v49
	v_fmac_f32_e32 v75, 0x3e9e377a, v93
	v_fmac_f32_e32 v0, 0x3e9e377a, v93
	v_add_f32_e32 v29, v29, v21
	v_fmac_f32_e32 v88, 0x3e9e377a, v20
	v_fmac_f32_e32 v91, 0x3f167918, v22
	;; [unrolled: 1-line block ×4, first 2 shown]
	v_add_f32_e32 v16, v16, v8
	v_fmamk_f32 v20, v19, 0xbf737871, v18
	v_sub_f32_e32 v21, v57, v68
	v_sub_f32_e32 v22, v12, v8
	;; [unrolled: 1-line block ×3, first 2 shown]
	v_fmac_f32_e32 v18, 0x3f737871, v19
	v_add_f32_e32 v93, v12, v13
	v_add_f32_e32 v16, v16, v10
	v_fmac_f32_e32 v20, 0xbf167918, v21
	v_add_f32_e32 v22, v22, v51
	v_fmac_f32_e32 v18, 0x3f167918, v21
	v_fmac_f32_e32 v1, -0.5, v93
	v_sub_f32_e32 v51, v8, v12
	v_sub_f32_e32 v93, v10, v13
	v_fmac_f32_e32 v91, 0x3e9e377a, v17
	v_fmac_f32_e32 v2, 0x3e9e377a, v17
	v_add_f32_e32 v16, v16, v13
	v_fmac_f32_e32 v20, 0x3e9e377a, v22
	v_fmac_f32_e32 v18, 0x3e9e377a, v22
	v_fmamk_f32 v17, v21, 0x3f737871, v1
	v_add_f32_e32 v22, v57, v68
	v_fmac_f32_e32 v1, 0xbf737871, v21
	v_sub_f32_e32 v12, v12, v13
	v_add_f32_e32 v13, v51, v93
	v_add_f32_e32 v51, v50, v49
	;; [unrolled: 1-line block ×3, first 2 shown]
	v_fma_f32 v22, -0.5, v22, v3
	v_fmac_f32_e32 v17, 0xbf167918, v19
	v_fmac_f32_e32 v1, 0x3f167918, v19
	v_sub_f32_e32 v8, v8, v10
	v_fmac_f32_e32 v3, -0.5, v51
	v_add_f32_e32 v19, v21, v57
	v_fmamk_f32 v21, v12, 0x3f737871, v22
	v_fmac_f32_e32 v17, 0x3e9e377a, v13
	v_fmac_f32_e32 v1, 0x3e9e377a, v13
	v_sub_f32_e32 v13, v50, v57
	v_fmac_f32_e32 v22, 0xbf737871, v12
	v_fmamk_f32 v93, v8, 0xbf737871, v3
	v_sub_f32_e32 v50, v57, v50
	v_sub_f32_e32 v51, v68, v49
	v_fmac_f32_e32 v3, 0x3f737871, v8
	v_fmac_f32_e32 v21, 0x3f167918, v8
	;; [unrolled: 1-line block ×4, first 2 shown]
	v_add_f32_e32 v8, v50, v51
	v_fmac_f32_e32 v3, 0xbf167918, v12
	v_fmamk_f32 v92, v125, 0xbf737871, v11
	v_fmac_f32_e32 v11, 0x3f737871, v125
	v_add_f32_e32 v10, v19, v68
	v_fmac_f32_e32 v93, 0x3e9e377a, v8
	v_fmac_f32_e32 v3, 0x3e9e377a, v8
	v_mov_b32_e32 v8, 0x604
	v_fmac_f32_e32 v92, 0xbf167918, v126
	v_fmac_f32_e32 v11, 0x3f167918, v126
	v_sub_f32_e32 v19, v49, v68
	v_cndmask_b32_e64 v12, 0, 0x604, s0
	v_mul_u32_u24_sdwa v8, v40, v8 dst_sel:DWORD dst_unused:UNUSED_PAD src0_sel:WORD_0 src1_sel:DWORD
	v_fmac_f32_e32 v92, 0x3e9e377a, v94
	v_fmac_f32_e32 v11, 0x3e9e377a, v94
	v_add_f32_e32 v94, v132, v159
	v_add_f32_e32 v13, v13, v19
	ds_write2_b32 v97, v83, v24 offset1:77
	ds_write2_b32 v97, v23, v63 offset0:154 offset1:231
	ds_write_b32 v97, v7 offset:1232
	v_lshl_add_u32 v7, v42, 2, 0
	v_add_f32_e32 v95, v131, v95
	v_add3_u32 v12, 0, v12, v36
	v_add3_u32 v8, 0, v8, v47
	v_add_f32_e32 v94, v94, v160
	v_fmac_f32_e32 v21, 0x3e9e377a, v13
	v_fmac_f32_e32 v22, 0x3e9e377a, v13
	v_add_nc_u32_e32 v13, 0xc00, v7
	v_mul_u32_u24_e32 v19, 0x604, v41
	ds_write2_b32 v12, v101, v99 offset1:77
	ds_write2_b32 v12, v105, v73 offset0:154 offset1:231
	ds_write_b32 v12, v77 offset:1232
	ds_write2_b32 v8, v95, v92 offset1:77
	ds_write2_b32 v8, v89, v65 offset0:154 offset1:231
	ds_write_b32 v8, v11 offset:1232
	ds_write2_b32 v13, v94, v102 offset0:2 offset1:79
	v_mul_u32_u24_e32 v11, 0x604, v43
	v_lshl_add_u32 v23, v44, 2, 0
	v_add3_u32 v19, 0, v19, v46
	v_add_f32_e32 v10, v10, v49
	ds_write2_b32 v13, v98, v59 offset0:156 offset1:233
	v_add3_u32 v11, 0, v11, v45
	v_add_nc_u32_e32 v24, 0x1800, v23
	ds_write_b32 v7, v71 offset:4312
	ds_write2_b32 v19, v100, v108 offset1:77
	ds_write2_b32 v19, v109, v64 offset0:154 offset1:231
	ds_write_b32 v19, v111 offset:1232
	ds_write2_b32 v11, v31, v48 offset1:77
	ds_write2_b32 v11, v75, v0 offset0:154 offset1:231
	ds_write_b32 v11, v90 offset:1232
	ds_write2_b32 v24, v16, v20 offset0:4 offset1:81
	ds_write2_b32 v24, v17, v1 offset0:158 offset1:235
	ds_write_b32 v23, v18 offset:7392
	s_waitcnt lgkmcnt(0)
	s_barrier
	buffer_gl0_inv
	ds_read_b32 v71, v97
	ds_read2_b32 v[44:45], v52 offset0:129 offset1:184
	ds_read2_b32 v[42:43], v53 offset0:75 offset1:130
	;; [unrolled: 1-line block ×8, first 2 shown]
	ds_read_b32 v77, v86
	ds_read2_b32 v[58:59], v56 offset0:167 offset1:222
	ds_read2_b32 v[56:57], v60 offset0:169 offset1:224
	ds_read_b32 v75, v85
	ds_read_b32 v73, v84
	;; [unrolled: 1-line block ×3, first 2 shown]
	ds_read2_b32 v[64:65], v61 offset0:93 offset1:148
	ds_read2_b32 v[62:63], v62 offset0:95 offset1:150
	;; [unrolled: 1-line block ×5, first 2 shown]
	s_waitcnt lgkmcnt(0)
	s_barrier
	buffer_gl0_inv
	ds_write2_b32 v97, v6, v14 offset1:77
	ds_write2_b32 v97, v15, v82 offset0:154 offset1:231
	ds_write_b32 v97, v5 offset:1232
	ds_write2_b32 v12, v87, v27 offset1:77
	ds_write2_b32 v12, v28, v81 offset0:154 offset1:231
	ds_write_b32 v12, v9 offset:1232
	;; [unrolled: 3-line block ×3, first 2 shown]
	ds_write2_b32 v13, v96, v103 offset0:2 offset1:79
	ds_write2_b32 v13, v107, v79 offset0:156 offset1:233
	ds_write_b32 v7, v104 offset:4312
	ds_write2_b32 v19, v110, v106 offset1:77
	ds_write2_b32 v19, v112, v80 offset0:154 offset1:231
	ds_write_b32 v19, v119 offset:1232
	ds_write2_b32 v11, v29, v88 offset1:77
	ds_write2_b32 v11, v91, v2 offset0:154 offset1:231
	ds_write_b32 v11, v118 offset:1232
	ds_write2_b32 v24, v10, v21 offset0:4 offset1:81
	ds_write2_b32 v24, v93, v3 offset0:158 offset1:235
	ds_write_b32 v23, v22 offset:7392
	s_waitcnt lgkmcnt(0)
	s_barrier
	buffer_gl0_inv
	s_and_saveexec_b32 s0, vcc_lo
	s_cbranch_execz .LBB0_23
; %bb.22:
	v_lshlrev_b32_e32 v36, 2, v76
	v_add_nc_u32_e32 v95, 0x400, v72
	v_add_nc_u32_e32 v92, 0xa00, v97
	;; [unrolled: 1-line block ×4, first 2 shown]
	v_lshlrev_b64 v[0:1], 3, v[36:37]
	v_lshlrev_b32_e32 v36, 2, v74
	v_add_nc_u32_e32 v74, 0x1000, v97
	v_add_nc_u32_e32 v98, 0x800, v97
	v_mul_lo_u32 v96, s5, v34
	v_mul_lo_u32 v102, s4, v35
	v_add_co_u32 v2, vcc_lo, s12, v0
	v_add_co_ci_u32_e32 v3, vcc_lo, s13, v1, vcc_lo
	v_lshlrev_b64 v[4:5], 3, v[36:37]
	v_add_co_u32 v0, vcc_lo, 0x800, v2
	v_add_co_ci_u32_e32 v1, vcc_lo, 0, v3, vcc_lo
	v_add_co_u32 v2, vcc_lo, 0xbd0, v2
	v_add_co_ci_u32_e32 v3, vcc_lo, 0, v3, vcc_lo
	v_lshlrev_b32_e32 v36, 2, v117
	s_clause 0x1
	global_load_dwordx4 v[8:11], v[0:1], off offset:976
	global_load_dwordx4 v[12:15], v[2:3], off offset:16
	v_add_co_u32 v2, vcc_lo, s12, v4
	v_add_co_ci_u32_e32 v3, vcc_lo, s13, v5, vcc_lo
	v_lshlrev_b64 v[16:17], 3, v[36:37]
	v_add_co_u32 v0, vcc_lo, 0x800, v2
	v_add_co_ci_u32_e32 v1, vcc_lo, 0, v3, vcc_lo
	v_add_co_u32 v4, vcc_lo, 0xbd0, v2
	v_add_co_ci_u32_e32 v5, vcc_lo, 0, v3, vcc_lo
	v_add_co_u32 v18, vcc_lo, s12, v16
	v_lshlrev_b32_e32 v36, 2, v116
	v_add_co_ci_u32_e32 v19, vcc_lo, s13, v17, vcc_lo
	v_add_co_u32 v16, vcc_lo, 0x800, v18
	v_lshlrev_b64 v[24:25], 3, v[36:37]
	v_add_co_ci_u32_e32 v17, vcc_lo, 0, v19, vcc_lo
	v_add_co_u32 v20, vcc_lo, 0xbd0, v18
	s_clause 0x1
	global_load_dwordx4 v[0:3], v[0:1], off offset:976
	global_load_dwordx4 v[4:7], v[4:5], off offset:16
	v_add_co_ci_u32_e32 v21, vcc_lo, 0, v19, vcc_lo
	v_add_co_u32 v26, vcc_lo, s12, v24
	v_add_co_ci_u32_e32 v27, vcc_lo, s13, v25, vcc_lo
	s_clause 0x1
	global_load_dwordx4 v[16:19], v[16:17], off offset:976
	global_load_dwordx4 v[20:23], v[20:21], off offset:16
	v_add_co_u32 v24, vcc_lo, 0x800, v26
	v_add_co_ci_u32_e32 v25, vcc_lo, 0, v27, vcc_lo
	v_add_co_u32 v28, vcc_lo, 0xbd0, v26
	v_add_co_ci_u32_e32 v29, vcc_lo, 0, v27, vcc_lo
	s_clause 0x1
	global_load_dwordx4 v[24:27], v[24:25], off offset:976
	global_load_dwordx4 v[28:31], v[28:29], off offset:16
	v_lshlrev_b32_e32 v36, 2, v115
	ds_read_b32 v80, v86
	ds_read_b32 v72, v85
	;; [unrolled: 1-line block ×3, first 2 shown]
	v_mad_u64_u32 v[34:35], null, s4, v34, 0
	v_add_nc_u32_e32 v99, 0x1400, v97
	v_lshlrev_b64 v[81:82], 3, v[36:37]
	v_add_nc_u32_e32 v101, 0x1200, v97
	v_add_nc_u32_e32 v78, 0xc00, v97
	;; [unrolled: 1-line block ×4, first 2 shown]
	v_add3_u32 v35, v35, v102, v96
	v_add_co_u32 v36, vcc_lo, s12, v81
	v_add_co_ci_u32_e32 v86, vcc_lo, s13, v82, vcc_lo
	v_add_co_u32 v81, vcc_lo, 0xbd0, v38
	v_add_co_ci_u32_e32 v82, vcc_lo, 0, v39, vcc_lo
	;; [unrolled: 2-line block ×4, first 2 shown]
	global_load_dwordx4 v[84:87], v[84:85], off offset:976
	ds_read_b32 v112, v70
	ds_read_b32 v70, v97
	v_lshlrev_b32_e32 v36, 2, v114
	global_load_dwordx4 v[88:91], v[88:89], off offset:16
	v_add_co_u32 v38, vcc_lo, 0x800, v38
	v_add_co_ci_u32_e32 v39, vcc_lo, 0, v39, vcc_lo
	v_lshlrev_b64 v[36:37], 3, v[36:37]
	ds_read2_b32 v[110:111], v92 offset0:75 offset1:130
	ds_read2_b32 v[115:116], v74 offset0:21 offset1:76
	;; [unrolled: 1-line block ×11, first 2 shown]
	v_lshlrev_b64 v[34:35], 3, v[34:35]
	v_add_co_u32 v92, vcc_lo, s12, v36
	v_add_co_ci_u32_e32 v93, vcc_lo, s13, v37, vcc_lo
	v_lshlrev_b64 v[32:33], 3, v[32:33]
	v_add_co_u32 v36, vcc_lo, 0x800, v92
	v_add_co_ci_u32_e32 v37, vcc_lo, 0, v93, vcc_lo
	v_add_co_u32 v106, vcc_lo, 0xbd0, v92
	v_add_co_ci_u32_e32 v107, vcc_lo, 0, v93, vcc_lo
	s_clause 0x3
	global_load_dwordx4 v[92:95], v[38:39], off offset:976
	global_load_dwordx4 v[98:101], v[81:82], off offset:16
	;; [unrolled: 1-line block ×4, first 2 shown]
	s_waitcnt vmcnt(13)
	v_mul_f32_e32 v36, v42, v9
	v_mul_f32_e32 v37, v67, v11
	s_waitcnt vmcnt(12)
	v_mul_f32_e32 v38, v69, v15
	v_mul_f32_e32 v39, v46, v13
	s_waitcnt lgkmcnt(10)
	v_mul_f32_e32 v9, v110, v9
	s_waitcnt lgkmcnt(8)
	v_mul_f32_e32 v81, v118, v15
	v_mul_f32_e32 v11, v116, v11
	s_waitcnt lgkmcnt(7)
	v_mul_f32_e32 v13, v119, v13
	v_fma_f32 v15, v8, v110, -v36
	v_fma_f32 v36, v10, v116, -v37
	;; [unrolled: 1-line block ×4, first 2 shown]
	v_fmac_f32_e32 v9, v42, v8
	v_fmac_f32_e32 v81, v69, v14
	;; [unrolled: 1-line block ×4, first 2 shown]
	v_sub_f32_e32 v114, v15, v37
	v_sub_f32_e32 v118, v36, v15
	;; [unrolled: 1-line block ×5, first 2 shown]
	v_add_f32_e32 v110, v11, v13
	v_add_f32_e32 v135, v15, v37
	v_sub_f32_e32 v136, v11, v9
	v_sub_f32_e32 v137, v13, v81
	v_add_f32_e32 v138, v9, v81
	s_waitcnt vmcnt(11)
	v_mul_f32_e32 v8, v65, v1
	v_mul_f32_e32 v10, v66, v3
	s_waitcnt vmcnt(10)
	v_mul_f32_e32 v12, v68, v7
	v_mul_f32_e32 v14, v63, v5
	s_waitcnt lgkmcnt(5)
	v_mul_f32_e32 v39, v124, v1
	v_mul_f32_e32 v42, v117, v7
	;; [unrolled: 1-line block ×3, first 2 shown]
	s_waitcnt lgkmcnt(4)
	v_mul_f32_e32 v67, v126, v5
	v_sub_f32_e32 v1, v15, v36
	v_sub_f32_e32 v3, v37, v38
	;; [unrolled: 1-line block ×3, first 2 shown]
	v_add_f32_e32 v15, v15, v122
	v_add_f32_e32 v9, v61, v9
	v_fma_f32 v8, v0, v124, -v8
	v_fma_f32 v10, v2, v115, -v10
	;; [unrolled: 1-line block ×4, first 2 shown]
	v_fmac_f32_e32 v39, v65, v0
	v_fmac_f32_e32 v42, v68, v6
	;; [unrolled: 1-line block ×4, first 2 shown]
	s_waitcnt vmcnt(9)
	v_mul_f32_e32 v4, v64, v17
	v_mul_f32_e32 v6, v59, v19
	v_mul_f32_e32 v17, v123, v17
	s_waitcnt vmcnt(8) lgkmcnt(2)
	v_mul_f32_e32 v63, v130, v23
	v_mul_f32_e32 v19, v128, v19
	;; [unrolled: 1-line block ×3, first 2 shown]
	v_sub_f32_e32 v82, v11, v13
	v_mul_f32_e32 v12, v57, v23
	v_mul_f32_e32 v14, v62, v21
	v_add_f32_e32 v23, v1, v3
	v_add_f32_e32 v66, v7, v96
	v_fma_f32 v0, -0.5, v110, v61
	v_add_f32_e32 v68, v118, v119
	v_fma_f32 v3, -0.5, v135, v122
	;; [unrolled: 2-line block ×3, first 2 shown]
	v_add_f32_e32 v15, v36, v15
	v_add_f32_e32 v9, v9, v11
	v_sub_f32_e32 v11, v8, v10
	v_sub_f32_e32 v21, v115, v117
	;; [unrolled: 1-line block ×7, first 2 shown]
	v_add_f32_e32 v137, v8, v115
	v_sub_f32_e32 v138, v46, v39
	v_add_f32_e32 v140, v39, v42
	v_add_f32_e32 v8, v8, v121
	v_add_f32_e32 v39, v60, v39
	v_fmac_f32_e32 v17, v64, v16
	v_fmac_f32_e32 v63, v57, v22
	;; [unrolled: 1-line block ×4, first 2 shown]
	v_add_f32_e32 v5, v36, v38
	v_sub_f32_e32 v116, v36, v38
	v_fma_f32 v123, v16, v123, -v4
	v_fma_f32 v128, v18, v128, -v6
	;; [unrolled: 1-line block ×4, first 2 shown]
	s_waitcnt vmcnt(7)
	v_mul_f32_e32 v18, v55, v25
	s_waitcnt vmcnt(6)
	v_mul_f32_e32 v20, v53, v29
	v_mul_f32_e32 v22, v56, v31
	s_waitcnt lgkmcnt(0)
	v_mul_f32_e32 v59, v134, v29
	v_mul_f32_e32 v62, v132, v25
	;; [unrolled: 1-line block ×3, first 2 shown]
	v_add_f32_e32 v25, v38, v15
	v_add_f32_e32 v29, v11, v21
	;; [unrolled: 1-line block ×7, first 2 shown]
	v_fma_f32 v1, -0.5, v5, v122
	v_add_f32_e32 v36, v10, v117
	v_sub_f32_e32 v119, v42, v67
	v_add_f32_e32 v122, v46, v67
	v_sub_f32_e32 v139, v67, v42
	v_mul_f32_e32 v16, v58, v27
	v_mul_f32_e32 v57, v127, v27
	v_add_f32_e32 v27, v9, v13
	v_fma_f32 v13, -0.5, v137, v121
	v_sub_f32_e32 v136, v123, v130
	v_sub_f32_e32 v137, v128, v125
	v_add_f32_e32 v145, v83, v17
	v_fma_f32 v132, v24, v132, -v18
	v_fma_f32 v134, v28, v134, -v20
	;; [unrolled: 1-line block ×3, first 2 shown]
	v_fmac_f32_e32 v62, v55, v24
	v_add_f32_e32 v18, v117, v21
	v_add_f32_e32 v22, v31, v67
	v_fma_f32 v24, -0.5, v135, v83
	v_fma_f32 v20, -0.5, v144, v83
	v_sub_f32_e32 v110, v46, v67
	v_sub_f32_e32 v126, v10, v117
	v_fma_f32 v15, -0.5, v36, v121
	v_add_f32_e32 v36, v118, v119
	v_fma_f32 v14, -0.5, v122, v60
	v_add_f32_e32 v64, v138, v139
	v_fma_f32 v12, -0.5, v140, v60
	v_sub_f32_e32 v39, v123, v128
	v_sub_f32_e32 v46, v130, v125
	;; [unrolled: 1-line block ×6, first 2 shown]
	v_add_f32_e32 v140, v123, v130
	v_sub_f32_e32 v142, v19, v17
	v_sub_f32_e32 v143, v65, v63
	v_add_f32_e32 v123, v123, v112
	v_fma_f32 v127, v26, v127, -v16
	v_fmac_f32_e32 v57, v58, v26
	v_fmac_f32_e32 v141, v56, v30
	v_add_f32_e32 v30, v145, v19
	v_add_f32_e32 v19, v115, v18
	;; [unrolled: 1-line block ×3, first 2 shown]
	v_fmamk_f32 v22, v136, 0x3f737871, v24
	v_fmamk_f32 v26, v137, 0xbf737871, v20
	v_fmac_f32_e32 v20, 0x3f737871, v137
	v_fmac_f32_e32 v24, 0xbf737871, v136
	;; [unrolled: 1-line block ×3, first 2 shown]
	v_fmamk_f32 v11, v61, 0xbf737871, v15
	v_fmamk_f32 v16, v126, 0xbf737871, v12
	v_fmac_f32_e32 v12, 0x3f737871, v126
	v_fmac_f32_e32 v15, 0x3f737871, v61
	v_add_f32_e32 v39, v39, v46
	v_add_f32_e32 v46, v121, v122
	;; [unrolled: 1-line block ×4, first 2 shown]
	v_sub_f32_e32 v56, v127, v132
	v_sub_f32_e32 v58, v134, v129
	v_fmac_f32_e32 v22, 0x3f167918, v137
	v_fmac_f32_e32 v26, 0x3f167918, v136
	;; [unrolled: 1-line block ×4, first 2 shown]
	v_fmamk_f32 v4, v114, 0x3f737871, v0
	v_fmamk_f32 v7, v82, 0x3f737871, v3
	v_fmac_f32_e32 v3, 0xbf737871, v82
	v_fmac_f32_e32 v0, 0xbf737871, v114
	v_sub_f32_e32 v118, v17, v63
	v_fmamk_f32 v17, v110, 0x3f737871, v13
	v_fmac_f32_e32 v13, 0xbf737871, v110
	v_fmac_f32_e32 v11, 0xbf167918, v110
	v_fmac_f32_e32 v16, 0x3f167918, v124
	v_fmac_f32_e32 v12, 0xbf167918, v124
	v_fmac_f32_e32 v15, 0x3f167918, v110
	v_add_f32_e32 v28, v125, v28
	v_add_f32_e32 v42, v30, v65
	v_fmac_f32_e32 v22, 0x3e9e377a, v46
	v_fmac_f32_e32 v26, 0x3e9e377a, v55
	v_fmac_f32_e32 v20, 0x3e9e377a, v55
	v_fmac_f32_e32 v24, 0x3e9e377a, v46
	v_add_f32_e32 v46, v56, v58
	v_sub_f32_e32 v55, v132, v127
	v_sub_f32_e32 v58, v129, v134
	v_fmamk_f32 v5, v69, 0xbf737871, v1
	v_fmac_f32_e32 v1, 0x3f737871, v69
	v_add_f32_e32 v60, v128, v125
	v_fmac_f32_e32 v4, 0x3f167918, v116
	v_fmac_f32_e32 v7, 0xbf167918, v69
	;; [unrolled: 1-line block ×10, first 2 shown]
	v_add_f32_e32 v29, v130, v28
	v_add_f32_e32 v28, v63, v42
	;; [unrolled: 1-line block ×3, first 2 shown]
	v_sub_f32_e32 v58, v62, v57
	v_sub_f32_e32 v63, v141, v59
	v_add_f32_e32 v64, v132, v80
	v_fmac_f32_e32 v5, 0xbf167918, v82
	v_add_f32_e32 v9, v37, v25
	v_fmac_f32_e32 v1, 0x3f167918, v82
	v_fma_f32 v25, -0.5, v60, v112
	v_fmac_f32_e32 v4, 0x3e9e377a, v66
	v_fmac_f32_e32 v7, 0x3e9e377a, v68
	;; [unrolled: 1-line block ×4, first 2 shown]
	v_add_f32_e32 v68, v58, v63
	v_add_f32_e32 v58, v127, v64
	ds_read2_b32 v[63:64], v78 offset0:57 offset1:112
	ds_read2_b32 v[65:66], v76 offset0:59 offset1:114
	v_add_f32_e32 v31, v132, v129
	v_fma_f32 v21, -0.5, v140, v112
	v_sub_f32_e32 v67, v62, v141
	v_sub_f32_e32 v69, v57, v62
	v_add_f32_e32 v37, v62, v141
	v_fmac_f32_e32 v5, 0x3e9e377a, v23
	v_fmac_f32_e32 v1, 0x3e9e377a, v23
	v_fmamk_f32 v23, v118, 0xbf737871, v25
	v_fmac_f32_e32 v25, 0x3f737871, v118
	v_add_f32_e32 v62, v77, v62
	v_fmamk_f32 v10, v124, 0x3f737871, v14
	v_fmac_f32_e32 v14, 0xbf737871, v124
	v_sub_f32_e32 v60, v57, v59
	v_fma_f32 v31, -0.5, v31, v80
	v_sub_f32_e32 v139, v125, v130
	v_add_f32_e32 v8, v81, v27
	v_fmamk_f32 v27, v119, 0x3f737871, v21
	v_fmac_f32_e32 v21, 0xbf737871, v119
	v_fmac_f32_e32 v17, 0x3e9e377a, v38
	;; [unrolled: 1-line block ×5, first 2 shown]
	v_add_f32_e32 v38, v127, v134
	v_add_f32_e32 v56, v57, v59
	;; [unrolled: 1-line block ×3, first 2 shown]
	v_sub_f32_e32 v82, v127, v134
	v_fmac_f32_e32 v10, 0x3f167918, v126
	v_fmac_f32_e32 v14, 0xbf167918, v126
	v_fma_f32 v30, -0.5, v37, v77
	v_fmamk_f32 v37, v60, 0x3f737871, v31
	v_fmac_f32_e32 v31, 0xbf737871, v60
	v_add_f32_e32 v53, v138, v139
	v_sub_f32_e32 v81, v59, v141
	v_fmac_f32_e32 v27, 0xbf167918, v118
	v_fmac_f32_e32 v21, 0x3f167918, v118
	;; [unrolled: 1-line block ×4, first 2 shown]
	v_sub_f32_e32 v42, v132, v129
	v_fma_f32 v39, -0.5, v38, v80
	v_fma_f32 v38, -0.5, v56, v77
	v_add_f32_e32 v57, v57, v59
	s_waitcnt vmcnt(5)
	v_mul_f32_e32 v59, v49, v87
	v_fmac_f32_e32 v10, 0x3e9e377a, v36
	v_fmac_f32_e32 v14, 0x3e9e377a, v36
	v_fmamk_f32 v36, v82, 0xbf737871, v30
	v_fmac_f32_e32 v37, 0xbf167918, v67
	v_fmac_f32_e32 v31, 0x3f167918, v67
	;; [unrolled: 1-line block ×5, first 2 shown]
	v_add_f32_e32 v53, v69, v81
	v_fmamk_f32 v55, v42, 0xbf737871, v38
	v_fmac_f32_e32 v38, 0x3f737871, v42
	s_waitcnt lgkmcnt(1)
	v_fma_f32 v76, v86, v64, -v59
	v_mul_f32_e32 v77, v131, v85
	s_waitcnt vmcnt(4) lgkmcnt(0)
	v_mul_f32_e32 v80, v66, v91
	v_mul_f32_e32 v64, v64, v87
	;; [unrolled: 1-line block ×3, first 2 shown]
	v_fmac_f32_e32 v36, 0x3f167918, v42
	v_fmac_f32_e32 v37, 0x3e9e377a, v46
	v_fmamk_f32 v56, v67, 0x3f737871, v39
	v_fmac_f32_e32 v39, 0xbf737871, v67
	v_fmac_f32_e32 v31, 0x3e9e377a, v46
	v_mul_f32_e32 v46, v54, v85
	v_fmac_f32_e32 v30, 0xbf167918, v42
	v_mul_f32_e32 v42, v52, v89
	v_mul_f32_e32 v59, v51, v91
	v_fmac_f32_e32 v55, 0xbf167918, v82
	v_fmac_f32_e32 v38, 0x3f167918, v82
	;; [unrolled: 1-line block ×8, first 2 shown]
	v_fma_f32 v46, v84, v131, -v46
	v_fma_f32 v42, v88, v133, -v42
	;; [unrolled: 1-line block ×3, first 2 shown]
	v_fmac_f32_e32 v55, 0x3e9e377a, v68
	v_fmac_f32_e32 v38, 0x3e9e377a, v68
	v_sub_f32_e32 v68, v64, v77
	v_sub_f32_e32 v69, v81, v80
	v_fmac_f32_e32 v56, 0x3e9e377a, v61
	v_fmac_f32_e32 v39, 0x3e9e377a, v61
	v_sub_f32_e32 v61, v46, v76
	v_add_f32_e32 v59, v76, v42
	v_sub_f32_e32 v51, v78, v42
	v_sub_f32_e32 v66, v76, v46
	;; [unrolled: 1-line block ×3, first 2 shown]
	v_add_f32_e32 v88, v68, v69
	v_add_nc_u32_e32 v68, 0x400, v97
	v_fma_f32 v60, -0.5, v59, v72
	v_sub_f32_e32 v49, v77, v80
	v_add_f32_e32 v82, v61, v51
	v_add_f32_e32 v61, v46, v78
	;; [unrolled: 1-line block ×3, first 2 shown]
	ds_read2_b32 v[66:67], v74 offset0:131 offset1:186
	ds_read2_b32 v[68:69], v68 offset0:129 offset1:184
	v_fmac_f32_e32 v36, 0x3e9e377a, v53
	v_fmac_f32_e32 v30, 0x3e9e377a, v53
	v_fmamk_f32 v52, v49, 0xbf737871, v60
	v_sub_f32_e32 v83, v64, v81
	v_sub_f32_e32 v53, v77, v64
	;; [unrolled: 1-line block ×3, first 2 shown]
	v_fma_f32 v62, -0.5, v61, v72
	v_fmac_f32_e32 v60, 0x3f737871, v49
	v_fmac_f32_e32 v52, 0xbf167918, v83
	v_sub_f32_e32 v84, v46, v78
	v_add_f32_e32 v85, v53, v54
	v_fmamk_f32 v54, v83, 0x3f737871, v62
	v_fmac_f32_e32 v62, 0xbf737871, v83
	v_fmac_f32_e32 v60, 0x3f167918, v83
	;; [unrolled: 1-line block ×3, first 2 shown]
	v_add_f32_e32 v46, v46, v72
	v_fmac_f32_e32 v54, 0xbf167918, v49
	v_fmac_f32_e32 v62, 0x3f167918, v49
	v_fmac_f32_e32 v60, 0x3e9e377a, v82
	s_waitcnt vmcnt(1)
	v_mul_f32_e32 v49, v48, v105
	s_waitcnt vmcnt(0)
	v_mul_f32_e32 v72, v41, v107
	v_mul_f32_e32 v82, v65, v109
	v_sub_f32_e32 v86, v76, v42
	v_add_f32_e32 v46, v76, v46
	v_mul_f32_e32 v74, v45, v103
	v_fma_f32 v76, v104, v63, -v49
	s_waitcnt lgkmcnt(1)
	v_fma_f32 v72, v106, v67, -v72
	v_mul_f32_e32 v49, v50, v109
	v_fmac_f32_e32 v82, v50, v108
	v_mul_f32_e32 v50, v63, v105
	v_mul_f32_e32 v67, v67, v107
	v_add_f32_e32 v51, v64, v81
	v_add_f32_e32 v53, v77, v80
	;; [unrolled: 1-line block ×4, first 2 shown]
	s_waitcnt lgkmcnt(0)
	v_mul_f32_e32 v77, v69, v103
	v_fma_f32 v69, v102, v69, -v74
	v_fma_f32 v65, v108, v65, -v49
	v_fmac_f32_e32 v50, v48, v104
	v_fmac_f32_e32 v67, v41, v106
	v_fma_f32 v59, -0.5, v51, v75
	v_fmac_f32_e32 v77, v45, v102
	v_add_f32_e32 v41, v42, v64
	v_sub_f32_e32 v45, v69, v76
	v_sub_f32_e32 v48, v65, v72
	v_add_f32_e32 v63, v50, v67
	v_fmamk_f32 v51, v84, 0x3f737871, v59
	v_fma_f32 v61, -0.5, v53, v75
	v_fmac_f32_e32 v59, 0xbf737871, v84
	v_add_f32_e32 v41, v41, v81
	v_add_f32_e32 v46, v78, v46
	v_add_f32_e32 v78, v45, v48
	v_fma_f32 v48, -0.5, v63, v73
	v_add_f32_e32 v63, v69, v65
	v_fmamk_f32 v53, v86, 0xbf737871, v61
	v_fmac_f32_e32 v51, 0x3f167918, v86
	v_fmac_f32_e32 v61, 0x3f737871, v86
	;; [unrolled: 1-line block ×3, first 2 shown]
	v_add_f32_e32 v45, v80, v41
	v_sub_f32_e32 v80, v69, v65
	v_fma_f32 v64, -0.5, v63, v79
	v_sub_f32_e32 v86, v76, v69
	v_add_f32_e32 v63, v77, v82
	v_add_f32_e32 v69, v69, v79
	v_fmac_f32_e32 v54, 0x3e9e377a, v87
	v_fmac_f32_e32 v62, 0x3e9e377a, v87
	v_add_f32_e32 v74, v76, v72
	v_sub_f32_e32 v87, v72, v65
	v_fma_f32 v63, -0.5, v63, v73
	v_add_f32_e32 v69, v76, v69
	v_add_f32_e32 v73, v73, v77
	v_fmac_f32_e32 v53, 0x3f167918, v84
	v_fmac_f32_e32 v61, 0xbf167918, v84
	v_fma_f32 v49, -0.5, v74, v79
	v_sub_f32_e32 v83, v77, v82
	v_sub_f32_e32 v84, v50, v67
	;; [unrolled: 1-line block ×3, first 2 shown]
	v_add_f32_e32 v86, v86, v87
	v_sub_f32_e32 v87, v50, v77
	v_add_f32_e32 v69, v72, v69
	v_add_f32_e32 v50, v73, v50
	v_fmac_f32_e32 v53, 0x3e9e377a, v88
	v_fmac_f32_e32 v61, 0x3e9e377a, v88
	v_fmamk_f32 v42, v83, 0xbf737871, v49
	v_sub_f32_e32 v81, v82, v67
	v_fmamk_f32 v75, v84, 0x3f737871, v64
	v_sub_f32_e32 v88, v67, v82
	v_fmac_f32_e32 v64, 0xbf737871, v84
	v_fmac_f32_e32 v49, 0x3f737871, v83
	v_add_f32_e32 v73, v65, v69
	v_add_f32_e32 v50, v50, v67
	v_mul_f32_e32 v65, v43, v95
	v_mul_f32_e32 v67, v40, v99
	v_fmac_f32_e32 v51, 0x3e9e377a, v85
	v_fmac_f32_e32 v59, 0x3e9e377a, v85
	;; [unrolled: 1-line block ×3, first 2 shown]
	v_sub_f32_e32 v85, v76, v72
	v_fmac_f32_e32 v75, 0xbf167918, v83
	v_fmac_f32_e32 v64, 0x3f167918, v83
	v_fmac_f32_e32 v49, 0x3f167918, v84
	v_mul_f32_e32 v69, v44, v93
	v_add_f32_e32 v72, v82, v50
	v_fma_f32 v50, v94, v111, -v65
	v_fma_f32 v82, v98, v66, -v67
	v_mul_f32_e32 v65, v47, v101
	v_mul_f32_e32 v84, v120, v101
	v_fmac_f32_e32 v75, 0x3e9e377a, v86
	v_add_f32_e32 v79, v87, v88
	v_fmac_f32_e32 v64, 0x3e9e377a, v86
	v_fma_f32 v69, v92, v68, -v69
	v_mul_f32_e32 v83, v68, v93
	v_add_f32_e32 v67, v50, v82
	v_mul_f32_e32 v86, v111, v95
	v_mul_f32_e32 v87, v66, v99
	v_fmac_f32_e32 v84, v47, v100
	v_fma_f32 v47, v100, v120, -v65
	v_add_f32_e32 v81, v74, v81
	v_fmamk_f32 v74, v85, 0xbf737871, v63
	v_fmac_f32_e32 v63, 0x3f737871, v85
	v_fmac_f32_e32 v83, v44, v92
	;; [unrolled: 1-line block ×4, first 2 shown]
	v_fma_f32 v44, -0.5, v67, v70
	v_sub_f32_e32 v65, v69, v50
	v_sub_f32_e32 v67, v47, v82
	v_fmac_f32_e32 v74, 0x3f167918, v80
	v_fmac_f32_e32 v63, 0xbf167918, v80
	v_sub_f32_e32 v68, v84, v87
	v_fmamk_f32 v41, v80, 0x3f737871, v48
	v_add_f32_e32 v88, v65, v67
	v_sub_f32_e32 v67, v83, v86
	v_fmac_f32_e32 v74, 0x3e9e377a, v79
	v_fmac_f32_e32 v63, 0x3e9e377a, v79
	v_mul_hi_u32 v79, 0x551c979b, v113
	v_fmac_f32_e32 v48, 0xbf737871, v80
	v_add_f32_e32 v90, v67, v68
	v_add_f32_e32 v67, v69, v47
	v_fmac_f32_e32 v41, 0x3f167918, v85
	v_sub_f32_e32 v80, v86, v87
	v_fmac_f32_e32 v48, 0xbf167918, v85
	v_add_f32_e32 v77, v83, v84
	v_fma_f32 v68, -0.5, v67, v70
	v_lshrrev_b32_e32 v79, 7, v79
	v_fmac_f32_e32 v42, 0x3e9e377a, v78
	v_fmac_f32_e32 v41, 0x3e9e377a, v81
	;; [unrolled: 1-line block ×3, first 2 shown]
	v_sub_f32_e32 v40, v83, v84
	v_fmac_f32_e32 v48, 0x3e9e377a, v81
	v_sub_f32_e32 v76, v50, v69
	v_sub_f32_e32 v78, v82, v47
	v_fma_f32 v67, -0.5, v77, v71
	v_fmamk_f32 v77, v80, 0x3f737871, v68
	v_sub_f32_e32 v81, v86, v83
	v_sub_f32_e32 v91, v87, v84
	v_fmac_f32_e32 v68, 0xbf737871, v80
	v_mul_u32_u24_e32 v79, 0x181, v79
	v_add_f32_e32 v78, v76, v78
	v_fmac_f32_e32 v77, 0xbf167918, v40
	v_add_f32_e32 v81, v81, v91
	v_fmac_f32_e32 v68, 0x3f167918, v40
	v_sub_nc_u32_e32 v91, v113, v79
	v_fmamk_f32 v66, v40, 0xbf737871, v44
	v_fmac_f32_e32 v77, 0x3e9e377a, v78
	v_sub_f32_e32 v89, v50, v82
	v_fmac_f32_e32 v68, 0x3e9e377a, v78
	v_mad_u64_u32 v[78:79], null, s2, v91, 0
	v_fmac_f32_e32 v44, 0x3f737871, v40
	v_add_f32_e32 v40, v69, v70
	v_add_f32_e32 v43, v86, v87
	v_sub_f32_e32 v85, v69, v47
	v_fmamk_f32 v76, v89, 0xbf737871, v67
	v_fmac_f32_e32 v67, 0x3f737871, v89
	v_add_f32_e32 v69, v71, v83
	v_add_f32_e32 v50, v50, v40
	v_mov_b32_e32 v40, v79
	v_fma_f32 v43, -0.5, v43, v71
	v_fmac_f32_e32 v76, 0x3f167918, v85
	v_fmac_f32_e32 v67, 0xbf167918, v85
	v_add_f32_e32 v71, v69, v86
	v_mad_u64_u32 v[69:70], null, s3, v91, v[40:41]
	v_add_nc_u32_e32 v40, 0x181, v91
	v_fmac_f32_e32 v66, 0xbf167918, v80
	v_fmac_f32_e32 v76, 0x3e9e377a, v81
	;; [unrolled: 1-line block ×4, first 2 shown]
	v_mad_u64_u32 v[80:81], null, s2, v40, 0
	v_add_f32_e32 v50, v82, v50
	v_add_f32_e32 v70, v71, v87
	v_fmamk_f32 v65, v85, 0x3f737871, v43
	v_fmac_f32_e32 v43, 0xbf737871, v85
	v_mov_b32_e32 v79, v69
	v_add_f32_e32 v71, v47, v50
	v_add_co_u32 v47, vcc_lo, s10, v34
	v_add_co_ci_u32_e32 v35, vcc_lo, s11, v35, vcc_lo
	v_mov_b32_e32 v34, v81
	v_add_co_u32 v32, vcc_lo, v47, v32
	v_add_co_ci_u32_e32 v33, vcc_lo, v35, v33, vcc_lo
	v_add_nc_u32_e32 v47, 0x302, v91
	v_mad_u64_u32 v[34:35], null, s3, v40, v[34:35]
	v_add_nc_u32_e32 v40, 0x483, v91
	v_add_nc_u32_e32 v50, 55, v113
	v_add_f32_e32 v70, v84, v70
	v_mad_u64_u32 v[82:83], null, s2, v47, 0
	v_mad_u64_u32 v[84:85], null, s2, v40, 0
	v_mul_hi_u32 v69, 0x551c979b, v50
	v_mov_b32_e32 v81, v34
	v_lshlrev_b64 v[78:79], 3, v[78:79]
	v_fmac_f32_e32 v43, 0xbf167918, v89
	v_mov_b32_e32 v35, v83
	v_fmac_f32_e32 v44, 0x3e9e377a, v88
	v_mov_b32_e32 v34, v85
	v_fmac_f32_e32 v65, 0x3f167918, v89
	v_lshrrev_b32_e32 v87, 7, v69
	v_mad_u64_u32 v[85:86], null, s3, v47, v[35:36]
	v_mad_u64_u32 v[34:35], null, s3, v40, v[34:35]
	v_mul_u32_u24_e32 v35, 0x181, v87
	v_add_co_u32 v78, vcc_lo, v32, v78
	v_add_co_ci_u32_e32 v79, vcc_lo, v33, v79, vcc_lo
	v_sub_nc_u32_e32 v47, v50, v35
	v_mov_b32_e32 v83, v85
	v_add_nc_u32_e32 v40, 0x604, v91
	global_store_dwordx2 v[78:79], v[70:71], off
	v_lshlrev_b64 v[69:70], 3, v[80:81]
	v_mov_b32_e32 v85, v34
	v_mad_u32_u24 v47, 0x785, v87, v47
	v_lshlrev_b64 v[78:79], 3, v[82:83]
	v_mad_u64_u32 v[34:35], null, s2, v40, 0
	v_add_co_u32 v69, vcc_lo, v32, v69
	v_lshlrev_b64 v[80:81], 3, v[84:85]
	v_mad_u64_u32 v[82:83], null, s2, v47, 0
	v_add_co_ci_u32_e32 v70, vcc_lo, v33, v70, vcc_lo
	v_add_co_u32 v78, vcc_lo, v32, v78
	v_add_co_ci_u32_e32 v79, vcc_lo, v33, v79, vcc_lo
	v_fmac_f32_e32 v43, 0x3e9e377a, v90
	v_add_co_u32 v80, vcc_lo, v32, v80
	v_add_nc_u32_e32 v50, 0x181, v47
	v_mad_u64_u32 v[84:85], null, s3, v40, v[35:36]
	v_mov_b32_e32 v35, v83
	v_add_co_ci_u32_e32 v81, vcc_lo, v33, v81, vcc_lo
	global_store_dwordx2 v[69:70], v[43:44], off
	global_store_dwordx2 v[78:79], v[67:68], off
	;; [unrolled: 1-line block ×3, first 2 shown]
	v_mad_u64_u32 v[43:44], null, s2, v50, 0
	v_add_nc_u32_e32 v81, 0x6e, v113
	v_mad_u64_u32 v[85:86], null, s3, v47, v[35:36]
	v_add_nc_u32_e32 v76, 0x302, v47
	v_mov_b32_e32 v35, v84
	v_mul_hi_u32 v78, 0x551c979b, v81
	v_mov_b32_e32 v40, v44
	v_fmac_f32_e32 v66, 0x3e9e377a, v88
	v_mad_u64_u32 v[67:68], null, s2, v76, 0
	v_mov_b32_e32 v83, v85
	v_lshlrev_b64 v[34:35], 3, v[34:35]
	v_mad_u64_u32 v[70:71], null, s3, v50, v[40:41]
	v_add_nc_u32_e32 v50, 0x483, v47
	v_lshrrev_b32_e32 v71, 7, v78
	v_mov_b32_e32 v44, v68
	v_lshlrev_b64 v[68:69], 3, v[82:83]
	v_add_co_u32 v34, vcc_lo, v32, v34
	v_fmac_f32_e32 v65, 0x3e9e377a, v90
	v_add_co_ci_u32_e32 v35, vcc_lo, v33, v35, vcc_lo
	v_mad_u64_u32 v[79:80], null, s2, v50, 0
	v_mul_u32_u24_e32 v40, 0x181, v71
	v_mad_u64_u32 v[76:77], null, s3, v76, v[44:45]
	v_add_co_u32 v77, vcc_lo, v32, v68
	v_add_co_ci_u32_e32 v78, vcc_lo, v33, v69, vcc_lo
	global_store_dwordx2 v[34:35], v[65:66], off
	v_sub_nc_u32_e32 v65, v81, v40
	v_mov_b32_e32 v40, v80
	v_mov_b32_e32 v44, v70
	v_mov_b32_e32 v68, v76
	global_store_dwordx2 v[77:78], v[72:73], off
	v_add_nc_u32_e32 v72, 0x604, v47
	v_mad_u32_u24 v81, 0x785, v71, v65
	v_mad_u64_u32 v[65:66], null, s3, v50, v[40:41]
	v_lshlrev_b64 v[34:35], 3, v[43:44]
	v_lshlrev_b64 v[43:44], 3, v[67:68]
	v_mad_u64_u32 v[66:67], null, s2, v72, 0
	v_mad_u64_u32 v[68:69], null, s2, v81, 0
	v_mov_b32_e32 v80, v65
	v_add_co_u32 v34, vcc_lo, v32, v34
	v_add_co_ci_u32_e32 v35, vcc_lo, v33, v35, vcc_lo
	v_mov_b32_e32 v40, v67
	v_mov_b32_e32 v47, v69
	v_lshlrev_b64 v[69:70], 3, v[79:80]
	v_add_co_u32 v43, vcc_lo, v32, v43
	v_mad_u64_u32 v[71:72], null, s3, v72, v[40:41]
	v_mad_u64_u32 v[72:73], null, s3, v81, v[47:48]
	v_add_nc_u32_e32 v47, 0x181, v81
	v_add_co_ci_u32_e32 v44, vcc_lo, v33, v44, vcc_lo
	v_add_nc_u32_e32 v65, 0xa5, v113
	v_add_nc_u32_e32 v50, 0x302, v81
	v_mad_u64_u32 v[78:79], null, s2, v47, 0
	global_store_dwordx2 v[34:35], v[48:49], off
	global_store_dwordx2 v[43:44], v[63:64], off
	v_mul_hi_u32 v63, 0x551c979b, v65
	v_mov_b32_e32 v67, v71
	v_add_co_u32 v76, vcc_lo, v32, v69
	v_mov_b32_e32 v40, v79
	v_mov_b32_e32 v69, v72
	v_lshlrev_b64 v[34:35], 3, v[66:67]
	v_add_co_ci_u32_e32 v77, vcc_lo, v33, v70, vcc_lo
	v_mad_u64_u32 v[47:48], null, s3, v47, v[40:41]
	v_mad_u64_u32 v[48:49], null, s2, v50, 0
	v_lshrrev_b32_e32 v66, 7, v63
	v_add_co_u32 v34, vcc_lo, v32, v34
	v_lshlrev_b64 v[43:44], 3, v[68:69]
	v_mov_b32_e32 v79, v47
	v_add_nc_u32_e32 v47, 0x483, v81
	v_mov_b32_e32 v40, v49
	v_mul_u32_u24_e32 v67, 0x181, v66
	v_add_co_ci_u32_e32 v35, vcc_lo, v33, v35, vcc_lo
	v_mad_u64_u32 v[63:64], null, s2, v47, 0
	v_mad_u64_u32 v[49:50], null, s3, v50, v[40:41]
	v_add_nc_u32_e32 v50, 0x604, v81
	v_sub_nc_u32_e32 v40, v65, v67
	global_store_dwordx2 v[76:77], v[74:75], off
	global_store_dwordx2 v[34:35], v[41:42], off
	v_add_co_u32 v43, vcc_lo, v32, v43
	v_mad_u64_u32 v[41:42], null, s2, v50, 0
	v_add_co_ci_u32_e32 v44, vcc_lo, v33, v44, vcc_lo
	v_mad_u32_u24 v65, 0x785, v66, v40
	v_mov_b32_e32 v40, v64
	v_lshlrev_b64 v[34:35], 3, v[78:79]
	global_store_dwordx2 v[43:44], v[45:46], off
	v_add_f32_e32 v58, v134, v58
	v_mad_u64_u32 v[43:44], null, s2, v65, 0
	v_mad_u64_u32 v[45:46], null, s3, v47, v[40:41]
	v_mov_b32_e32 v40, v42
	v_add_nc_u32_e32 v66, 0x181, v65
	v_lshlrev_b64 v[46:47], 3, v[48:49]
	v_add_co_u32 v34, vcc_lo, v32, v34
	v_mov_b32_e32 v42, v44
	v_mov_b32_e32 v64, v45
	v_mad_u64_u32 v[44:45], null, s3, v50, v[40:41]
	v_add_co_ci_u32_e32 v35, vcc_lo, v33, v35, vcc_lo
	v_mad_u64_u32 v[48:49], null, s3, v65, v[42:43]
	v_mad_u64_u32 v[49:50], null, s2, v66, 0
	v_mov_b32_e32 v42, v44
	v_add_co_u32 v45, vcc_lo, v32, v46
	v_add_co_ci_u32_e32 v46, vcc_lo, v33, v47, vcc_lo
	v_lshlrev_b64 v[41:42], 3, v[41:42]
	global_store_dwordx2 v[34:35], v[59:60], off
	v_lshlrev_b64 v[34:35], 3, v[63:64]
	v_mov_b32_e32 v40, v50
	v_mov_b32_e32 v44, v48
	v_add_nc_u32_e32 v48, 0x302, v65
	global_store_dwordx2 v[45:46], v[61:62], off
	v_add_nc_u32_e32 v64, 0x483, v65
	v_mad_u64_u32 v[45:46], null, s3, v66, v[40:41]
	v_add_co_u32 v34, vcc_lo, v32, v34
	v_lshlrev_b64 v[43:44], 3, v[43:44]
	v_mad_u64_u32 v[46:47], null, s2, v48, 0
	v_add_co_ci_u32_e32 v35, vcc_lo, v33, v35, vcc_lo
	v_add_co_u32 v40, vcc_lo, v32, v41
	v_add_co_ci_u32_e32 v41, vcc_lo, v33, v42, vcc_lo
	v_add_co_u32 v42, vcc_lo, v32, v43
	v_add_co_ci_u32_e32 v43, vcc_lo, v33, v44, vcc_lo
	v_mov_b32_e32 v44, v47
	v_mov_b32_e32 v50, v45
	v_add_nc_u32_e32 v63, 0xdc, v113
	v_mad_u64_u32 v[59:60], null, s2, v64, 0
	v_mad_u64_u32 v[44:45], null, s3, v48, v[44:45]
	v_add_nc_u32_e32 v45, 0x604, v65
	v_mul_hi_u32 v47, 0x551c979b, v63
	v_add_f32_e32 v58, v129, v58
	v_add_f32_e32 v57, v57, v141
	global_store_dwordx2 v[34:35], v[53:54], off
	global_store_dwordx2 v[40:41], v[51:52], off
	;; [unrolled: 1-line block ×3, first 2 shown]
	v_mad_u64_u32 v[61:62], null, s2, v45, 0
	v_mov_b32_e32 v40, v60
	v_lshrrev_b32_e32 v48, 7, v47
	v_mov_b32_e32 v47, v44
	v_lshlrev_b64 v[34:35], 3, v[49:50]
	v_fmamk_f32 v6, v116, 0xbf737871, v2
	v_fmac_f32_e32 v2, 0x3f737871, v116
	v_mov_b32_e32 v41, v62
	v_mul_u32_u24_e32 v44, 0x181, v48
	v_add_co_u32 v34, vcc_lo, v32, v34
	v_mad_u64_u32 v[42:43], null, s3, v64, v[40:41]
	v_add_co_ci_u32_e32 v35, vcc_lo, v33, v35, vcc_lo
	v_fmac_f32_e32 v2, 0xbf167918, v114
	v_fmac_f32_e32 v6, 0x3f167918, v114
	v_mad_u64_u32 v[40:41], null, s3, v45, v[41:42]
	v_sub_nc_u32_e32 v41, v63, v44
	v_lshlrev_b64 v[43:44], 3, v[46:47]
	v_mov_b32_e32 v60, v42
	v_fmac_f32_e32 v2, 0x3e9e377a, v96
	v_fmac_f32_e32 v6, 0x3e9e377a, v96
	v_mad_u32_u24 v53, 0x785, v48, v41
	v_mov_b32_e32 v62, v40
	v_add_co_u32 v42, vcc_lo, v32, v43
	v_add_co_ci_u32_e32 v43, vcc_lo, v33, v44, vcc_lo
	v_add_nc_u32_e32 v52, 0x181, v53
	v_mad_u64_u32 v[40:41], null, s2, v53, 0
	v_lshlrev_b64 v[44:45], 3, v[59:60]
	v_lshlrev_b64 v[46:47], 3, v[61:62]
	v_mad_u64_u32 v[48:49], null, s2, v52, 0
	v_mad_u64_u32 v[50:51], null, s3, v53, v[41:42]
	v_add_co_u32 v44, vcc_lo, v32, v44
	v_add_co_ci_u32_e32 v45, vcc_lo, v33, v45, vcc_lo
	v_mov_b32_e32 v41, v49
	v_add_co_u32 v46, vcc_lo, v32, v46
	v_add_co_ci_u32_e32 v47, vcc_lo, v33, v47, vcc_lo
	v_mad_u64_u32 v[51:52], null, s3, v52, v[41:42]
	v_mov_b32_e32 v41, v50
	global_store_dwordx2 v[34:35], v[55:56], off
	global_store_dwordx2 v[42:43], v[30:31], off
	;; [unrolled: 1-line block ×4, first 2 shown]
	v_add_nc_u32_e32 v45, 0x113, v113
	v_add_nc_u32_e32 v43, 0x483, v53
	;; [unrolled: 1-line block ×3, first 2 shown]
	v_lshlrev_b64 v[30:31], 3, v[40:41]
	v_add_nc_u32_e32 v40, 0x302, v53
	v_mul_hi_u32 v41, 0x551c979b, v45
	v_mov_b32_e32 v49, v51
	v_mad_u64_u32 v[36:37], null, s2, v43, 0
	v_mad_u64_u32 v[34:35], null, s2, v40, 0
	v_lshlrev_b64 v[38:39], 3, v[48:49]
	v_add_co_u32 v30, vcc_lo, v32, v30
	v_lshrrev_b32_e32 v47, 7, v41
	v_add_co_ci_u32_e32 v31, vcc_lo, v33, v31, vcc_lo
	v_mad_u64_u32 v[40:41], null, s3, v40, v[35:36]
	v_mul_u32_u24_e32 v48, 0x181, v47
	v_mov_b32_e32 v35, v37
	v_mad_u64_u32 v[41:42], null, s2, v46, 0
	v_add_co_u32 v37, vcc_lo, v32, v38
	v_add_co_ci_u32_e32 v38, vcc_lo, v33, v39, vcc_lo
	v_sub_nc_u32_e32 v39, v45, v48
	v_mad_u64_u32 v[43:44], null, s3, v43, v[35:36]
	v_mov_b32_e32 v35, v40
	global_store_dwordx2 v[30:31], v[28:29], off
	global_store_dwordx2 v[37:38], v[24:25], off
	v_mov_b32_e32 v24, v42
	v_mad_u32_u24 v40, 0x785, v47, v39
	v_lshlrev_b64 v[28:29], 3, v[34:35]
	v_mov_b32_e32 v37, v43
	v_mad_u64_u32 v[24:25], null, s3, v46, v[24:25]
	v_mad_u64_u32 v[30:31], null, s2, v40, 0
	v_add_nc_u32_e32 v43, 0x181, v40
	v_lshlrev_b64 v[34:35], 3, v[36:37]
	v_add_co_u32 v28, vcc_lo, v32, v28
	v_mov_b32_e32 v42, v24
	v_mad_u64_u32 v[36:37], null, s2, v43, 0
	v_mov_b32_e32 v24, v31
	v_add_co_ci_u32_e32 v29, vcc_lo, v33, v29, vcc_lo
	v_add_co_u32 v34, vcc_lo, v32, v34
	v_add_co_ci_u32_e32 v35, vcc_lo, v33, v35, vcc_lo
	v_lshlrev_b64 v[38:39], 3, v[41:42]
	v_mad_u64_u32 v[24:25], null, s3, v40, v[24:25]
	global_store_dwordx2 v[28:29], v[20:21], off
	global_store_dwordx2 v[34:35], v[26:27], off
	v_mov_b32_e32 v20, v37
	v_add_nc_u32_e32 v29, 0x302, v40
	v_add_co_u32 v25, vcc_lo, v32, v38
	v_add_co_ci_u32_e32 v26, vcc_lo, v33, v39, vcc_lo
	v_mov_b32_e32 v31, v24
	v_mad_u64_u32 v[20:21], null, s3, v43, v[20:21]
	v_add_nc_u32_e32 v34, 0x483, v40
	global_store_dwordx2 v[25:26], v[22:23], off
	v_lshlrev_b64 v[21:22], 3, v[30:31]
	v_mad_u64_u32 v[23:24], null, s2, v29, 0
	v_mad_u64_u32 v[25:26], null, s2, v34, 0
	v_mov_b32_e32 v37, v20
	v_add_co_u32 v20, vcc_lo, v32, v21
	v_add_co_ci_u32_e32 v21, vcc_lo, v33, v22, vcc_lo
	v_mov_b32_e32 v22, v24
	v_lshlrev_b64 v[27:28], 3, v[36:37]
	v_mov_b32_e32 v24, v26
	v_add_nc_u32_e32 v36, 0x14a, v113
	global_store_dwordx2 v[20:21], v[18:19], off
	v_mad_u64_u32 v[29:30], null, s3, v29, v[22:23]
	v_add_nc_u32_e32 v22, 0x604, v40
	v_mad_u64_u32 v[30:31], null, s3, v34, v[24:25]
	v_mul_hi_u32 v24, 0x551c979b, v36
	v_add_co_u32 v27, vcc_lo, v32, v27
	v_mad_u64_u32 v[34:35], null, s2, v22, 0
	v_add_co_ci_u32_e32 v28, vcc_lo, v33, v28, vcc_lo
	v_mov_b32_e32 v26, v30
	v_lshrrev_b32_e32 v31, 7, v24
	v_mov_b32_e32 v24, v29
	global_store_dwordx2 v[27:28], v[14:15], off
	v_mov_b32_e32 v14, v35
	v_lshlrev_b64 v[20:21], 3, v[25:26]
	v_mul_u32_u24_e32 v27, 0x181, v31
	v_lshlrev_b64 v[18:19], 3, v[23:24]
	v_mad_u64_u32 v[14:15], null, s3, v22, v[14:15]
	v_sub_nc_u32_e32 v15, v36, v27
	v_add_co_u32 v18, vcc_lo, v32, v18
	v_add_co_ci_u32_e32 v19, vcc_lo, v33, v19, vcc_lo
	v_mad_u32_u24 v24, 0x785, v31, v15
	v_add_co_u32 v20, vcc_lo, v32, v20
	v_add_co_ci_u32_e32 v21, vcc_lo, v33, v21, vcc_lo
	v_add_nc_u32_e32 v22, 0x181, v24
	v_add_nc_u32_e32 v25, 0x302, v24
	v_mov_b32_e32 v35, v14
	v_mad_u64_u32 v[14:15], null, s2, v24, 0
	global_store_dwordx2 v[18:19], v[12:13], off
	global_store_dwordx2 v[20:21], v[16:17], off
	v_mad_u64_u32 v[16:17], null, s2, v22, 0
	v_mad_u64_u32 v[18:19], null, s2, v25, 0
	v_lshlrev_b64 v[12:13], 3, v[34:35]
	v_add_nc_u32_e32 v27, 0x483, v24
	v_add_nc_u32_e32 v28, 0x604, v24
	v_mad_u64_u32 v[20:21], null, s3, v24, v[15:16]
	v_mov_b32_e32 v15, v19
	v_mad_u64_u32 v[21:22], null, s3, v22, v[17:18]
	v_add_co_u32 v12, vcc_lo, v32, v12
	v_mad_u64_u32 v[22:23], null, s2, v27, 0
	v_add_co_ci_u32_e32 v13, vcc_lo, v33, v13, vcc_lo
	v_mad_u64_u32 v[24:25], null, s3, v25, v[15:16]
	v_mov_b32_e32 v15, v20
	v_mad_u64_u32 v[25:26], null, s2, v28, 0
	global_store_dwordx2 v[12:13], v[10:11], off
	v_mov_b32_e32 v10, v23
	v_lshlrev_b64 v[11:12], 3, v[14:15]
	v_mov_b32_e32 v17, v21
	v_mov_b32_e32 v19, v24
	v_mad_u64_u32 v[13:14], null, s3, v27, v[10:11]
	v_mov_b32_e32 v10, v26
	v_add_co_u32 v11, vcc_lo, v32, v11
	v_lshlrev_b64 v[14:15], 3, v[16:17]
	v_add_co_ci_u32_e32 v12, vcc_lo, v33, v12, vcc_lo
	v_mad_u64_u32 v[16:17], null, s3, v28, v[10:11]
	v_lshlrev_b64 v[17:18], 3, v[18:19]
	v_mov_b32_e32 v23, v13
	v_add_co_u32 v13, vcc_lo, v32, v14
	v_add_co_ci_u32_e32 v14, vcc_lo, v33, v15, vcc_lo
	v_mov_b32_e32 v26, v16
	v_lshlrev_b64 v[19:20], 3, v[22:23]
	v_add_co_u32 v15, vcc_lo, v32, v17
	v_add_co_ci_u32_e32 v16, vcc_lo, v33, v18, vcc_lo
	v_lshlrev_b64 v[17:18], 3, v[25:26]
	v_add_co_u32 v19, vcc_lo, v32, v19
	v_add_co_ci_u32_e32 v20, vcc_lo, v33, v20, vcc_lo
	v_add_co_u32 v17, vcc_lo, v32, v17
	v_add_co_ci_u32_e32 v18, vcc_lo, v33, v18, vcc_lo
	global_store_dwordx2 v[11:12], v[8:9], off
	global_store_dwordx2 v[13:14], v[0:1], off
	;; [unrolled: 1-line block ×5, first 2 shown]
.LBB0_23:
	s_endpgm
	.section	.rodata,"a",@progbits
	.p2align	6, 0x0
	.amdhsa_kernel fft_rtc_back_len1925_factors_7_11_5_5_wgs_55_tpt_55_halfLds_sp_op_CI_CI_sbrr_dirReg
		.amdhsa_group_segment_fixed_size 0
		.amdhsa_private_segment_fixed_size 0
		.amdhsa_kernarg_size 104
		.amdhsa_user_sgpr_count 6
		.amdhsa_user_sgpr_private_segment_buffer 1
		.amdhsa_user_sgpr_dispatch_ptr 0
		.amdhsa_user_sgpr_queue_ptr 0
		.amdhsa_user_sgpr_kernarg_segment_ptr 1
		.amdhsa_user_sgpr_dispatch_id 0
		.amdhsa_user_sgpr_flat_scratch_init 0
		.amdhsa_user_sgpr_private_segment_size 0
		.amdhsa_wavefront_size32 1
		.amdhsa_uses_dynamic_stack 0
		.amdhsa_system_sgpr_private_segment_wavefront_offset 0
		.amdhsa_system_sgpr_workgroup_id_x 1
		.amdhsa_system_sgpr_workgroup_id_y 0
		.amdhsa_system_sgpr_workgroup_id_z 0
		.amdhsa_system_sgpr_workgroup_info 0
		.amdhsa_system_vgpr_workitem_id 0
		.amdhsa_next_free_vgpr 206
		.amdhsa_next_free_sgpr 31
		.amdhsa_reserve_vcc 1
		.amdhsa_reserve_flat_scratch 0
		.amdhsa_float_round_mode_32 0
		.amdhsa_float_round_mode_16_64 0
		.amdhsa_float_denorm_mode_32 3
		.amdhsa_float_denorm_mode_16_64 3
		.amdhsa_dx10_clamp 1
		.amdhsa_ieee_mode 1
		.amdhsa_fp16_overflow 0
		.amdhsa_workgroup_processor_mode 1
		.amdhsa_memory_ordered 1
		.amdhsa_forward_progress 0
		.amdhsa_shared_vgpr_count 0
		.amdhsa_exception_fp_ieee_invalid_op 0
		.amdhsa_exception_fp_denorm_src 0
		.amdhsa_exception_fp_ieee_div_zero 0
		.amdhsa_exception_fp_ieee_overflow 0
		.amdhsa_exception_fp_ieee_underflow 0
		.amdhsa_exception_fp_ieee_inexact 0
		.amdhsa_exception_int_div_zero 0
	.end_amdhsa_kernel
	.text
.Lfunc_end0:
	.size	fft_rtc_back_len1925_factors_7_11_5_5_wgs_55_tpt_55_halfLds_sp_op_CI_CI_sbrr_dirReg, .Lfunc_end0-fft_rtc_back_len1925_factors_7_11_5_5_wgs_55_tpt_55_halfLds_sp_op_CI_CI_sbrr_dirReg
                                        ; -- End function
	.section	.AMDGPU.csdata,"",@progbits
; Kernel info:
; codeLenInByte = 27164
; NumSgprs: 33
; NumVgprs: 206
; ScratchSize: 0
; MemoryBound: 0
; FloatMode: 240
; IeeeMode: 1
; LDSByteSize: 0 bytes/workgroup (compile time only)
; SGPRBlocks: 4
; VGPRBlocks: 25
; NumSGPRsForWavesPerEU: 33
; NumVGPRsForWavesPerEU: 206
; Occupancy: 4
; WaveLimiterHint : 1
; COMPUTE_PGM_RSRC2:SCRATCH_EN: 0
; COMPUTE_PGM_RSRC2:USER_SGPR: 6
; COMPUTE_PGM_RSRC2:TRAP_HANDLER: 0
; COMPUTE_PGM_RSRC2:TGID_X_EN: 1
; COMPUTE_PGM_RSRC2:TGID_Y_EN: 0
; COMPUTE_PGM_RSRC2:TGID_Z_EN: 0
; COMPUTE_PGM_RSRC2:TIDIG_COMP_CNT: 0
	.text
	.p2alignl 6, 3214868480
	.fill 48, 4, 3214868480
	.type	__hip_cuid_41542e9545928209,@object ; @__hip_cuid_41542e9545928209
	.section	.bss,"aw",@nobits
	.globl	__hip_cuid_41542e9545928209
__hip_cuid_41542e9545928209:
	.byte	0                               ; 0x0
	.size	__hip_cuid_41542e9545928209, 1

	.ident	"AMD clang version 19.0.0git (https://github.com/RadeonOpenCompute/llvm-project roc-6.4.0 25133 c7fe45cf4b819c5991fe208aaa96edf142730f1d)"
	.section	".note.GNU-stack","",@progbits
	.addrsig
	.addrsig_sym __hip_cuid_41542e9545928209
	.amdgpu_metadata
---
amdhsa.kernels:
  - .args:
      - .actual_access:  read_only
        .address_space:  global
        .offset:         0
        .size:           8
        .value_kind:     global_buffer
      - .offset:         8
        .size:           8
        .value_kind:     by_value
      - .actual_access:  read_only
        .address_space:  global
        .offset:         16
        .size:           8
        .value_kind:     global_buffer
      - .actual_access:  read_only
        .address_space:  global
        .offset:         24
        .size:           8
        .value_kind:     global_buffer
      - .actual_access:  read_only
        .address_space:  global
        .offset:         32
        .size:           8
        .value_kind:     global_buffer
      - .offset:         40
        .size:           8
        .value_kind:     by_value
      - .actual_access:  read_only
        .address_space:  global
        .offset:         48
        .size:           8
        .value_kind:     global_buffer
      - .actual_access:  read_only
        .address_space:  global
        .offset:         56
        .size:           8
        .value_kind:     global_buffer
      - .offset:         64
        .size:           4
        .value_kind:     by_value
      - .actual_access:  read_only
        .address_space:  global
        .offset:         72
        .size:           8
        .value_kind:     global_buffer
      - .actual_access:  read_only
        .address_space:  global
        .offset:         80
        .size:           8
        .value_kind:     global_buffer
      - .actual_access:  read_only
        .address_space:  global
        .offset:         88
        .size:           8
        .value_kind:     global_buffer
      - .actual_access:  write_only
        .address_space:  global
        .offset:         96
        .size:           8
        .value_kind:     global_buffer
    .group_segment_fixed_size: 0
    .kernarg_segment_align: 8
    .kernarg_segment_size: 104
    .language:       OpenCL C
    .language_version:
      - 2
      - 0
    .max_flat_workgroup_size: 55
    .name:           fft_rtc_back_len1925_factors_7_11_5_5_wgs_55_tpt_55_halfLds_sp_op_CI_CI_sbrr_dirReg
    .private_segment_fixed_size: 0
    .sgpr_count:     33
    .sgpr_spill_count: 0
    .symbol:         fft_rtc_back_len1925_factors_7_11_5_5_wgs_55_tpt_55_halfLds_sp_op_CI_CI_sbrr_dirReg.kd
    .uniform_work_group_size: 1
    .uses_dynamic_stack: false
    .vgpr_count:     206
    .vgpr_spill_count: 0
    .wavefront_size: 32
    .workgroup_processor_mode: 1
amdhsa.target:   amdgcn-amd-amdhsa--gfx1030
amdhsa.version:
  - 1
  - 2
...

	.end_amdgpu_metadata
